;; amdgpu-corpus repo=ROCm/rocFFT kind=compiled arch=gfx1100 opt=O3
	.text
	.amdgcn_target "amdgcn-amd-amdhsa--gfx1100"
	.amdhsa_code_object_version 6
	.protected	fft_rtc_fwd_len289_factors_17_17_wgs_119_tpt_17_dp_ip_CI_sbcc_twdbase5_3step_dirReg_intrinsicRead ; -- Begin function fft_rtc_fwd_len289_factors_17_17_wgs_119_tpt_17_dp_ip_CI_sbcc_twdbase5_3step_dirReg_intrinsicRead
	.globl	fft_rtc_fwd_len289_factors_17_17_wgs_119_tpt_17_dp_ip_CI_sbcc_twdbase5_3step_dirReg_intrinsicRead
	.p2align	8
	.type	fft_rtc_fwd_len289_factors_17_17_wgs_119_tpt_17_dp_ip_CI_sbcc_twdbase5_3step_dirReg_intrinsicRead,@function
fft_rtc_fwd_len289_factors_17_17_wgs_119_tpt_17_dp_ip_CI_sbcc_twdbase5_3step_dirReg_intrinsicRead: ; @fft_rtc_fwd_len289_factors_17_17_wgs_119_tpt_17_dp_ip_CI_sbcc_twdbase5_3step_dirReg_intrinsicRead
; %bb.0:
	s_load_b256 s[4:11], s[0:1], 0x8
	v_mov_b32_e32 v5, v0
	s_mov_b32 s18, s15
	s_mov_b32 s2, exec_lo
	s_delay_alu instid0(VALU_DEP_1)
	v_cmpx_gt_u32_e32 0x60, v5
	s_cbranch_execz .LBB0_2
; %bb.1:
	v_lshlrev_b32_e32 v4, 4, v5
	s_waitcnt lgkmcnt(0)
	global_load_b128 v[0:3], v4, s[4:5]
	v_add3_u32 v4, 0, v4, 0x7e70
	s_waitcnt vmcnt(0)
	ds_store_2addr_b64 v4, v[0:1], v[2:3] offset1:1
.LBB0_2:
	s_or_b32 exec_lo, exec_lo, s2
	s_waitcnt lgkmcnt(0)
	s_load_b64 s[16:17], s[8:9], 0x8
	s_mov_b64 s[22:23], 0
	s_waitcnt lgkmcnt(0)
	s_add_u32 s2, s16, -1
	s_addc_u32 s3, s17, -1
	s_add_u32 s4, 0, 0x92481000
	s_addc_u32 s5, 0, 0x64
	s_mul_hi_u32 s13, s4, -7
	s_add_i32 s5, s5, 0x249248c0
	s_sub_i32 s13, s13, s4
	s_mul_i32 s15, s5, -7
	s_mul_i32 s12, s4, -7
	s_add_i32 s13, s13, s15
	s_mul_hi_u32 s14, s4, s12
	s_mul_i32 s20, s4, s13
	s_mul_hi_u32 s15, s4, s13
	s_mul_hi_u32 s19, s5, s12
	s_mul_i32 s12, s5, s12
	s_add_u32 s14, s14, s20
	s_addc_u32 s15, 0, s15
	s_mul_hi_u32 s21, s5, s13
	s_add_u32 s12, s14, s12
	s_mul_i32 s13, s5, s13
	s_addc_u32 s12, s15, s19
	s_addc_u32 s14, s21, 0
	s_add_u32 s12, s12, s13
	s_delay_alu instid0(SALU_CYCLE_1) | instskip(SKIP_3) | instid1(VALU_DEP_1)
	v_add_co_u32 v0, s4, s4, s12
	s_addc_u32 s12, 0, s14
	s_cmp_lg_u32 s4, 0
	s_addc_u32 s4, s5, s12
	v_readfirstlane_b32 s5, v0
	s_mul_i32 s13, s2, s4
	s_mul_hi_u32 s12, s2, s4
	s_mul_hi_u32 s14, s3, s4
	s_mul_i32 s4, s3, s4
	s_mul_hi_u32 s15, s2, s5
	s_mul_hi_u32 s19, s3, s5
	s_mul_i32 s5, s3, s5
	s_add_u32 s13, s15, s13
	s_addc_u32 s12, 0, s12
	s_add_u32 s5, s13, s5
	s_addc_u32 s5, s12, s19
	s_addc_u32 s12, s14, 0
	s_add_u32 s4, s5, s4
	s_addc_u32 s5, 0, s12
	s_mul_i32 s13, s4, 7
	s_add_u32 s12, s4, 1
	v_sub_co_u32 v0, s2, s2, s13
	s_mul_hi_u32 s13, s4, 7
	s_addc_u32 s14, s5, 0
	s_mul_i32 s15, s5, 7
	s_delay_alu instid0(VALU_DEP_1)
	v_sub_co_u32 v1, s19, v0, 7
	s_add_u32 s20, s4, 2
	s_addc_u32 s21, s5, 0
	s_add_i32 s13, s13, s15
	s_cmp_lg_u32 s2, 0
	v_readfirstlane_b32 s2, v1
	s_subb_u32 s3, s3, s13
	s_cmp_lg_u32 s19, 0
	s_mov_b32 s19, 0
	s_subb_u32 s13, s3, 0
	s_cmp_gt_u32 s2, 6
	s_cselect_b32 s2, -1, 0
	s_cmp_eq_u32 s13, 0
	v_readfirstlane_b32 s13, v0
	s_cselect_b32 s2, s2, -1
	s_delay_alu instid0(SALU_CYCLE_1)
	s_cmp_lg_u32 s2, 0
	s_cselect_b32 s2, s20, s12
	s_cselect_b32 s12, s21, s14
	s_cmp_gt_u32 s13, 6
	s_cselect_b32 s13, -1, 0
	s_cmp_eq_u32 s3, 0
	s_cselect_b32 s3, s13, -1
	s_delay_alu instid0(SALU_CYCLE_1) | instskip(SKIP_4) | instid1(SALU_CYCLE_1)
	s_cmp_lg_u32 s3, 0
	s_cselect_b32 s2, s2, s4
	s_cselect_b32 s3, s12, s5
	s_add_u32 s20, s2, 1
	s_addc_u32 s21, s3, 0
	v_cmp_lt_u64_e64 s2, s[18:19], s[20:21]
	s_delay_alu instid0(VALU_DEP_1)
	s_and_b32 vcc_lo, exec_lo, s2
	s_cbranch_vccnz .LBB0_4
; %bb.3:
	v_cvt_f32_u32_e32 v0, s20
	s_sub_i32 s3, 0, s20
	s_mov_b32 s23, s19
	s_delay_alu instid0(VALU_DEP_1) | instskip(SKIP_2) | instid1(VALU_DEP_1)
	v_rcp_iflag_f32_e32 v0, v0
	s_waitcnt_depctr 0xfff
	v_mul_f32_e32 v0, 0x4f7ffffe, v0
	v_cvt_u32_f32_e32 v0, v0
	s_delay_alu instid0(VALU_DEP_1) | instskip(NEXT) | instid1(VALU_DEP_1)
	v_readfirstlane_b32 s2, v0
	s_mul_i32 s3, s3, s2
	s_delay_alu instid0(SALU_CYCLE_1) | instskip(NEXT) | instid1(SALU_CYCLE_1)
	s_mul_hi_u32 s3, s2, s3
	s_add_i32 s2, s2, s3
	s_delay_alu instid0(SALU_CYCLE_1) | instskip(NEXT) | instid1(SALU_CYCLE_1)
	s_mul_hi_u32 s2, s18, s2
	s_mul_i32 s3, s2, s20
	s_add_i32 s4, s2, 1
	s_sub_i32 s3, s18, s3
	s_delay_alu instid0(SALU_CYCLE_1)
	s_sub_i32 s5, s3, s20
	s_cmp_ge_u32 s3, s20
	s_cselect_b32 s2, s4, s2
	s_cselect_b32 s3, s5, s3
	s_add_i32 s4, s2, 1
	s_cmp_ge_u32 s3, s20
	s_cselect_b32 s22, s4, s2
.LBB0_4:
	s_load_b128 s[12:15], s[10:11], 0x0
	s_clause 0x1
	s_load_b64 s[2:3], s[0:1], 0x58
	s_load_b64 s[4:5], s[0:1], 0x0
	s_mul_i32 s0, s22, s21
	s_mul_hi_u32 s1, s22, s20
	s_mul_i32 s24, s22, s20
	s_add_i32 s1, s1, s0
	s_sub_u32 s34, s18, s24
	s_subb_u32 s0, 0, s1
	s_mul_hi_u32 s33, s34, 7
	s_mul_i32 s0, s0, 7
	v_cmp_lt_u64_e64 s25, s[6:7], 3
	s_mul_i32 s34, s34, 7
	s_add_i32 s33, s33, s0
	s_delay_alu instid0(VALU_DEP_1)
	s_and_b32 vcc_lo, exec_lo, s25
	s_waitcnt lgkmcnt(0)
	s_mul_i32 s0, s14, s33
	s_mul_hi_u32 s1, s14, s34
	s_mul_i32 s24, s15, s34
	s_add_i32 s0, s1, s0
	s_mul_i32 s35, s14, s34
	s_add_i32 s36, s0, s24
	s_cbranch_vccnz .LBB0_14
; %bb.5:
	s_add_u32 s0, s10, 16
	s_addc_u32 s1, s11, 0
	s_add_u32 s8, s8, 16
	s_addc_u32 s9, s9, 0
	s_mov_b64 s[24:25], 2
	s_mov_b32 s26, 0
.LBB0_6:                                ; =>This Inner Loop Header: Depth=1
	s_load_b64 s[28:29], s[8:9], 0x0
	s_waitcnt lgkmcnt(0)
	s_or_b64 s[30:31], s[22:23], s[28:29]
	s_delay_alu instid0(SALU_CYCLE_1) | instskip(NEXT) | instid1(SALU_CYCLE_1)
	s_mov_b32 s27, s31
                                        ; implicit-def: $sgpr30_sgpr31
	s_cmp_lg_u64 s[26:27], 0
	s_mov_b32 s27, -1
	s_cbranch_scc0 .LBB0_8
; %bb.7:                                ;   in Loop: Header=BB0_6 Depth=1
	v_cvt_f32_u32_e32 v0, s28
	v_cvt_f32_u32_e32 v1, s29
	s_sub_u32 s31, 0, s28
	s_subb_u32 s37, 0, s29
	s_delay_alu instid0(VALU_DEP_1) | instskip(NEXT) | instid1(VALU_DEP_1)
	v_fmac_f32_e32 v0, 0x4f800000, v1
	v_rcp_f32_e32 v0, v0
	s_waitcnt_depctr 0xfff
	v_mul_f32_e32 v0, 0x5f7ffffc, v0
	s_delay_alu instid0(VALU_DEP_1) | instskip(NEXT) | instid1(VALU_DEP_1)
	v_mul_f32_e32 v1, 0x2f800000, v0
	v_trunc_f32_e32 v1, v1
	s_delay_alu instid0(VALU_DEP_1) | instskip(SKIP_1) | instid1(VALU_DEP_2)
	v_fmac_f32_e32 v0, 0xcf800000, v1
	v_cvt_u32_f32_e32 v1, v1
	v_cvt_u32_f32_e32 v0, v0
	s_delay_alu instid0(VALU_DEP_2) | instskip(NEXT) | instid1(VALU_DEP_2)
	v_readfirstlane_b32 s27, v1
	v_readfirstlane_b32 s30, v0
	s_delay_alu instid0(VALU_DEP_2) | instskip(NEXT) | instid1(VALU_DEP_1)
	s_mul_i32 s38, s31, s27
	s_mul_hi_u32 s40, s31, s30
	s_mul_i32 s39, s37, s30
	s_add_i32 s38, s40, s38
	s_mul_i32 s41, s31, s30
	s_add_i32 s38, s38, s39
	s_mul_hi_u32 s40, s30, s41
	s_mul_hi_u32 s42, s27, s41
	s_mul_i32 s39, s27, s41
	s_mul_hi_u32 s41, s30, s38
	s_mul_i32 s30, s30, s38
	s_mul_hi_u32 s43, s27, s38
	s_add_u32 s30, s40, s30
	s_addc_u32 s40, 0, s41
	s_add_u32 s30, s30, s39
	s_mul_i32 s38, s27, s38
	s_addc_u32 s30, s40, s42
	s_addc_u32 s39, s43, 0
	s_add_u32 s30, s30, s38
	s_addc_u32 s38, 0, s39
	v_add_co_u32 v0, s30, v0, s30
	s_delay_alu instid0(VALU_DEP_1) | instskip(SKIP_1) | instid1(VALU_DEP_1)
	s_cmp_lg_u32 s30, 0
	s_addc_u32 s27, s27, s38
	v_readfirstlane_b32 s30, v0
	s_mul_i32 s38, s31, s27
	s_delay_alu instid0(VALU_DEP_1)
	s_mul_hi_u32 s39, s31, s30
	s_mul_i32 s37, s37, s30
	s_add_i32 s38, s39, s38
	s_mul_i32 s31, s31, s30
	s_add_i32 s38, s38, s37
	s_mul_hi_u32 s39, s27, s31
	s_mul_i32 s40, s27, s31
	s_mul_hi_u32 s31, s30, s31
	s_mul_hi_u32 s41, s30, s38
	s_mul_i32 s30, s30, s38
	s_mul_hi_u32 s37, s27, s38
	s_add_u32 s30, s31, s30
	s_addc_u32 s31, 0, s41
	s_add_u32 s30, s30, s40
	s_mul_i32 s38, s27, s38
	s_addc_u32 s30, s31, s39
	s_addc_u32 s31, s37, 0
	s_add_u32 s30, s30, s38
	s_addc_u32 s31, 0, s31
	v_add_co_u32 v0, s30, v0, s30
	s_delay_alu instid0(VALU_DEP_1) | instskip(SKIP_1) | instid1(VALU_DEP_1)
	s_cmp_lg_u32 s30, 0
	s_addc_u32 s27, s27, s31
	v_readfirstlane_b32 s30, v0
	s_mul_i32 s37, s22, s27
	s_mul_hi_u32 s31, s22, s27
	s_mul_hi_u32 s38, s23, s27
	s_mul_i32 s27, s23, s27
	s_mul_hi_u32 s39, s22, s30
	s_mul_hi_u32 s40, s23, s30
	s_mul_i32 s30, s23, s30
	s_add_u32 s37, s39, s37
	s_addc_u32 s31, 0, s31
	s_add_u32 s30, s37, s30
	s_addc_u32 s30, s31, s40
	s_addc_u32 s31, s38, 0
	s_add_u32 s30, s30, s27
	s_addc_u32 s31, 0, s31
	s_mul_hi_u32 s27, s28, s30
	s_mul_i32 s38, s28, s31
	s_mul_i32 s39, s28, s30
	s_add_i32 s27, s27, s38
	v_sub_co_u32 v0, s38, s22, s39
	s_mul_i32 s37, s29, s30
	s_delay_alu instid0(SALU_CYCLE_1) | instskip(NEXT) | instid1(VALU_DEP_1)
	s_add_i32 s27, s27, s37
	v_sub_co_u32 v1, s39, v0, s28
	s_sub_i32 s37, s23, s27
	s_cmp_lg_u32 s38, 0
	s_subb_u32 s37, s37, s29
	s_cmp_lg_u32 s39, 0
	v_readfirstlane_b32 s39, v1
	s_subb_u32 s37, s37, 0
	s_delay_alu instid0(SALU_CYCLE_1) | instskip(SKIP_1) | instid1(VALU_DEP_1)
	s_cmp_ge_u32 s37, s29
	s_cselect_b32 s40, -1, 0
	s_cmp_ge_u32 s39, s28
	s_cselect_b32 s39, -1, 0
	s_cmp_eq_u32 s37, s29
	s_cselect_b32 s37, s39, s40
	s_add_u32 s39, s30, 1
	s_addc_u32 s40, s31, 0
	s_add_u32 s41, s30, 2
	s_addc_u32 s42, s31, 0
	s_cmp_lg_u32 s37, 0
	s_cselect_b32 s37, s41, s39
	s_cselect_b32 s39, s42, s40
	s_cmp_lg_u32 s38, 0
	v_readfirstlane_b32 s38, v0
	s_subb_u32 s27, s23, s27
	s_delay_alu instid0(SALU_CYCLE_1) | instskip(SKIP_1) | instid1(VALU_DEP_1)
	s_cmp_ge_u32 s27, s29
	s_cselect_b32 s40, -1, 0
	s_cmp_ge_u32 s38, s28
	s_cselect_b32 s38, -1, 0
	s_cmp_eq_u32 s27, s29
	s_cselect_b32 s27, s38, s40
	s_delay_alu instid0(SALU_CYCLE_1)
	s_cmp_lg_u32 s27, 0
	s_mov_b32 s27, 0
	s_cselect_b32 s31, s39, s31
	s_cselect_b32 s30, s37, s30
.LBB0_8:                                ;   in Loop: Header=BB0_6 Depth=1
	s_and_not1_b32 vcc_lo, exec_lo, s27
	s_cbranch_vccnz .LBB0_10
; %bb.9:                                ;   in Loop: Header=BB0_6 Depth=1
	v_cvt_f32_u32_e32 v0, s28
	s_sub_i32 s30, 0, s28
	s_waitcnt_depctr 0xfff
	v_rcp_iflag_f32_e32 v0, v0
	s_waitcnt_depctr 0xfff
	v_mul_f32_e32 v0, 0x4f7ffffe, v0
	s_delay_alu instid0(VALU_DEP_1) | instskip(NEXT) | instid1(VALU_DEP_1)
	v_cvt_u32_f32_e32 v0, v0
	v_readfirstlane_b32 s27, v0
	s_delay_alu instid0(VALU_DEP_1) | instskip(NEXT) | instid1(SALU_CYCLE_1)
	s_mul_i32 s30, s30, s27
	s_mul_hi_u32 s30, s27, s30
	s_delay_alu instid0(SALU_CYCLE_1) | instskip(NEXT) | instid1(SALU_CYCLE_1)
	s_add_i32 s27, s27, s30
	s_mul_hi_u32 s27, s22, s27
	s_delay_alu instid0(SALU_CYCLE_1) | instskip(SKIP_2) | instid1(SALU_CYCLE_1)
	s_mul_i32 s30, s27, s28
	s_add_i32 s31, s27, 1
	s_sub_i32 s30, s22, s30
	s_sub_i32 s37, s30, s28
	s_cmp_ge_u32 s30, s28
	s_cselect_b32 s27, s31, s27
	s_cselect_b32 s30, s37, s30
	s_add_i32 s31, s27, 1
	s_cmp_ge_u32 s30, s28
	s_cselect_b32 s30, s31, s27
	s_mov_b32 s31, s26
.LBB0_10:                               ;   in Loop: Header=BB0_6 Depth=1
	s_load_b64 s[38:39], s[0:1], 0x0
	s_mul_i32 s21, s28, s21
	s_mul_hi_u32 s27, s28, s20
	s_mul_i32 s37, s29, s20
	s_mul_i32 s29, s30, s29
	s_mul_hi_u32 s40, s30, s28
	s_mul_i32 s41, s31, s28
	s_add_i32 s21, s27, s21
	s_add_i32 s27, s40, s29
	s_mul_i32 s42, s30, s28
	s_add_i32 s21, s21, s37
	s_add_i32 s27, s27, s41
	s_sub_u32 s22, s22, s42
	s_subb_u32 s23, s23, s27
	s_mul_i32 s20, s28, s20
	s_waitcnt lgkmcnt(0)
	s_mul_i32 s23, s38, s23
	s_mul_hi_u32 s27, s38, s22
	s_delay_alu instid0(SALU_CYCLE_1)
	s_add_i32 s23, s27, s23
	s_mul_i32 s27, s39, s22
	s_mul_i32 s22, s38, s22
	s_add_i32 s23, s23, s27
	s_add_u32 s35, s22, s35
	s_addc_u32 s36, s23, s36
	s_add_u32 s24, s24, 1
	s_addc_u32 s25, s25, 0
	s_add_u32 s0, s0, 8
	v_cmp_ge_u64_e64 s22, s[24:25], s[6:7]
	s_addc_u32 s1, s1, 0
	s_add_u32 s8, s8, 8
	s_addc_u32 s9, s9, 0
	s_delay_alu instid0(VALU_DEP_1)
	s_and_b32 vcc_lo, exec_lo, s22
	s_cbranch_vccnz .LBB0_12
; %bb.11:                               ;   in Loop: Header=BB0_6 Depth=1
	s_mov_b64 s[22:23], s[30:31]
	s_branch .LBB0_6
.LBB0_12:
	v_cmp_lt_u64_e64 s0, s[18:19], s[20:21]
	s_mov_b64 s[22:23], 0
	s_delay_alu instid0(VALU_DEP_1)
	s_and_b32 vcc_lo, exec_lo, s0
	s_cbranch_vccnz .LBB0_14
; %bb.13:
	v_cvt_f32_u32_e32 v0, s20
	s_sub_i32 s1, 0, s20
	s_delay_alu instid0(VALU_DEP_1) | instskip(SKIP_2) | instid1(VALU_DEP_1)
	v_rcp_iflag_f32_e32 v0, v0
	s_waitcnt_depctr 0xfff
	v_mul_f32_e32 v0, 0x4f7ffffe, v0
	v_cvt_u32_f32_e32 v0, v0
	s_delay_alu instid0(VALU_DEP_1) | instskip(NEXT) | instid1(VALU_DEP_1)
	v_readfirstlane_b32 s0, v0
	s_mul_i32 s1, s1, s0
	s_delay_alu instid0(SALU_CYCLE_1) | instskip(NEXT) | instid1(SALU_CYCLE_1)
	s_mul_hi_u32 s1, s0, s1
	s_add_i32 s0, s0, s1
	s_delay_alu instid0(SALU_CYCLE_1) | instskip(NEXT) | instid1(SALU_CYCLE_1)
	s_mul_hi_u32 s0, s18, s0
	s_mul_i32 s1, s0, s20
	s_add_i32 s8, s0, 1
	s_sub_i32 s1, s18, s1
	s_delay_alu instid0(SALU_CYCLE_1)
	s_sub_i32 s9, s1, s20
	s_cmp_ge_u32 s1, s20
	s_cselect_b32 s0, s8, s0
	s_cselect_b32 s1, s9, s1
	s_add_i32 s8, s0, 1
	s_cmp_ge_u32 s1, s20
	s_cselect_b32 s22, s8, s0
.LBB0_14:
	v_mul_hi_u32 v255, 0x24924925, v5
	s_lshl_b64 s[0:1], s[6:7], 3
	s_delay_alu instid0(SALU_CYCLE_1) | instskip(SKIP_2) | instid1(VALU_DEP_1)
	s_add_u32 s0, s10, s0
	s_addc_u32 s1, s11, s1
	s_load_b64 s[0:1], s[0:1], 0x0
	v_mul_u32_u24_e32 v0, 7, v255
	s_delay_alu instid0(VALU_DEP_1) | instskip(SKIP_4) | instid1(VALU_DEP_1)
	v_sub_nc_u32_e32 v0, v5, v0
	scratch_store_b32 off, v5, off offset:232 ; 4-byte Folded Spill
	v_mov_b32_e32 v5, 0
	v_mad_u64_u32 v[57:58], null, s14, v0, 0
	v_add_co_u32 v71, s6, s34, v0
	v_add_co_ci_u32_e64 v72, null, s33, 0, s6
	scratch_store_b32 off, v0, off offset:8 ; 4-byte Folded Spill
	s_waitcnt lgkmcnt(0)
	s_mul_i32 s1, s1, s22
	v_mov_b32_e32 v1, v58
	s_mul_hi_u32 s6, s0, s22
	s_mul_i32 s0, s0, s22
	s_add_i32 s6, s6, s1
	s_add_u32 s0, s0, s35
	v_mad_u64_u32 v[2:3], null, s15, v0, v[1:2]
	s_addc_u32 s1, s6, s36
	v_mov_b32_e32 v7, 0
	s_add_u32 s6, s34, 7
	v_mov_b32_e32 v8, 0
	s_addc_u32 s7, s33, 0
	v_cmp_gt_u64_e32 vcc_lo, s[16:17], v[71:72]
	s_delay_alu instid0(VALU_DEP_4) | instskip(SKIP_4) | instid1(VALU_DEP_4)
	v_mov_b32_e32 v58, v2
	v_cmp_le_u64_e64 s6, s[6:7], s[16:17]
	v_mov_b32_e32 v3, v7
	v_dual_mov_b32 v1, v7 :: v_dual_mov_b32 v2, v8
	v_mov_b32_e32 v4, v8
	s_or_b32 s33, s6, vcc_lo
	s_delay_alu instid0(SALU_CYCLE_1)
	s_and_saveexec_b32 s6, s33
	s_cbranch_execz .LBB0_16
; %bb.15:
	v_mul_lo_u32 v0, s12, v255
	s_delay_alu instid0(VALU_DEP_1) | instskip(NEXT) | instid1(VALU_DEP_1)
	v_add3_u32 v4, s0, v57, v0
	v_lshlrev_b64 v[1:2], 4, v[4:5]
	s_delay_alu instid0(VALU_DEP_1) | instskip(NEXT) | instid1(VALU_DEP_2)
	v_add_co_u32 v1, vcc_lo, s2, v1
	v_add_co_ci_u32_e32 v2, vcc_lo, s3, v2, vcc_lo
	global_load_b128 v[1:4], v[1:2], off
.LBB0_16:
	s_or_b32 exec_lo, exec_lo, s6
	v_dual_mov_b32 v5, v7 :: v_dual_mov_b32 v6, v8
	s_and_saveexec_b32 s6, s33
	s_cbranch_execz .LBB0_18
; %bb.17:
	v_add_nc_u32_e32 v0, 17, v255
	v_mov_b32_e32 v6, 0
	s_delay_alu instid0(VALU_DEP_2) | instskip(NEXT) | instid1(VALU_DEP_1)
	v_mul_lo_u32 v0, s12, v0
	v_add3_u32 v5, s0, v57, v0
	s_delay_alu instid0(VALU_DEP_1) | instskip(NEXT) | instid1(VALU_DEP_1)
	v_lshlrev_b64 v[5:6], 4, v[5:6]
	v_add_co_u32 v5, vcc_lo, s2, v5
	s_delay_alu instid0(VALU_DEP_2)
	v_add_co_ci_u32_e32 v6, vcc_lo, s3, v6, vcc_lo
	global_load_b128 v[5:8], v[5:6], off
.LBB0_18:
	s_or_b32 exec_lo, exec_lo, s6
	v_mov_b32_e32 v15, 0
	v_mov_b32_e32 v16, 0
	s_delay_alu instid0(VALU_DEP_2) | instskip(NEXT) | instid1(VALU_DEP_2)
	v_mov_b32_e32 v11, v15
	v_dual_mov_b32 v9, v15 :: v_dual_mov_b32 v10, v16
	v_mov_b32_e32 v12, v16
	s_and_saveexec_b32 s6, s33
	s_cbranch_execz .LBB0_20
; %bb.19:
	v_add_nc_u32_e32 v0, 34, v255
	v_mov_b32_e32 v10, 0
	s_delay_alu instid0(VALU_DEP_2) | instskip(NEXT) | instid1(VALU_DEP_1)
	v_mul_lo_u32 v0, s12, v0
	v_add3_u32 v9, s0, v57, v0
	s_delay_alu instid0(VALU_DEP_1) | instskip(NEXT) | instid1(VALU_DEP_1)
	v_lshlrev_b64 v[9:10], 4, v[9:10]
	v_add_co_u32 v9, vcc_lo, s2, v9
	s_delay_alu instid0(VALU_DEP_2)
	v_add_co_ci_u32_e32 v10, vcc_lo, s3, v10, vcc_lo
	global_load_b128 v[9:12], v[9:10], off
.LBB0_20:
	s_or_b32 exec_lo, exec_lo, s6
	v_dual_mov_b32 v13, v15 :: v_dual_mov_b32 v14, v16
	s_and_saveexec_b32 s6, s33
	s_cbranch_execz .LBB0_22
; %bb.21:
	v_add_nc_u32_e32 v0, 51, v255
	v_mov_b32_e32 v14, 0
	s_delay_alu instid0(VALU_DEP_2) | instskip(NEXT) | instid1(VALU_DEP_1)
	v_mul_lo_u32 v0, s12, v0
	v_add3_u32 v13, s0, v57, v0
	s_delay_alu instid0(VALU_DEP_1) | instskip(NEXT) | instid1(VALU_DEP_1)
	v_lshlrev_b64 v[13:14], 4, v[13:14]
	v_add_co_u32 v13, vcc_lo, s2, v13
	s_delay_alu instid0(VALU_DEP_2)
	v_add_co_ci_u32_e32 v14, vcc_lo, s3, v14, vcc_lo
	global_load_b128 v[13:16], v[13:14], off
.LBB0_22:
	s_or_b32 exec_lo, exec_lo, s6
	v_mov_b32_e32 v23, 0
	v_mov_b32_e32 v24, 0
	s_delay_alu instid0(VALU_DEP_2) | instskip(NEXT) | instid1(VALU_DEP_2)
	v_mov_b32_e32 v19, v23
	v_dual_mov_b32 v17, v23 :: v_dual_mov_b32 v18, v24
	v_mov_b32_e32 v20, v24
	s_and_saveexec_b32 s6, s33
	s_cbranch_execz .LBB0_24
; %bb.23:
	v_add_nc_u32_e32 v0, 0x44, v255
	v_mov_b32_e32 v18, 0
	s_delay_alu instid0(VALU_DEP_2) | instskip(NEXT) | instid1(VALU_DEP_1)
	v_mul_lo_u32 v0, s12, v0
	v_add3_u32 v17, s0, v57, v0
	s_delay_alu instid0(VALU_DEP_1) | instskip(NEXT) | instid1(VALU_DEP_1)
	v_lshlrev_b64 v[17:18], 4, v[17:18]
	v_add_co_u32 v17, vcc_lo, s2, v17
	s_delay_alu instid0(VALU_DEP_2)
	v_add_co_ci_u32_e32 v18, vcc_lo, s3, v18, vcc_lo
	global_load_b128 v[17:20], v[17:18], off
.LBB0_24:
	;; [unrolled: 39-line block ×3, first 2 shown]
	s_or_b32 exec_lo, exec_lo, s6
	v_dual_mov_b32 v29, v31 :: v_dual_mov_b32 v30, v32
	s_and_saveexec_b32 s6, s33
	s_cbranch_execz .LBB0_30
; %bb.29:
	v_add_nc_u32_e32 v0, 0x77, v255
	v_mov_b32_e32 v30, 0
	s_delay_alu instid0(VALU_DEP_2) | instskip(NEXT) | instid1(VALU_DEP_1)
	v_mul_lo_u32 v0, s12, v0
	v_add3_u32 v29, s0, v57, v0
	s_delay_alu instid0(VALU_DEP_1) | instskip(NEXT) | instid1(VALU_DEP_1)
	v_lshlrev_b64 v[29:30], 4, v[29:30]
	v_add_co_u32 v29, vcc_lo, s2, v29
	s_delay_alu instid0(VALU_DEP_2)
	v_add_co_ci_u32_e32 v30, vcc_lo, s3, v30, vcc_lo
	global_load_b128 v[29:32], v[29:30], off
.LBB0_30:
	s_or_b32 exec_lo, exec_lo, s6
	v_mov_b32_e32 v35, 0
	v_mov_b32_e32 v36, 0
	s_delay_alu instid0(VALU_DEP_1)
	v_dual_mov_b32 v40, v36 :: v_dual_mov_b32 v39, v35
	v_dual_mov_b32 v38, v36 :: v_dual_mov_b32 v37, v35
	s_and_saveexec_b32 s6, s33
	s_cbranch_execz .LBB0_32
; %bb.31:
	v_add_nc_u32_e32 v0, 0x88, v255
	v_mov_b32_e32 v34, 0
	s_delay_alu instid0(VALU_DEP_2) | instskip(NEXT) | instid1(VALU_DEP_1)
	v_mul_lo_u32 v0, s12, v0
	v_add3_u32 v33, s0, v57, v0
	s_delay_alu instid0(VALU_DEP_1) | instskip(NEXT) | instid1(VALU_DEP_1)
	v_lshlrev_b64 v[33:34], 4, v[33:34]
	v_add_co_u32 v33, vcc_lo, s2, v33
	s_delay_alu instid0(VALU_DEP_2)
	v_add_co_ci_u32_e32 v34, vcc_lo, s3, v34, vcc_lo
	global_load_b128 v[37:40], v[33:34], off
.LBB0_32:
	s_or_b32 exec_lo, exec_lo, s6
	v_dual_mov_b32 v33, v35 :: v_dual_mov_b32 v34, v36
	s_and_saveexec_b32 s6, s33
	s_cbranch_execz .LBB0_34
; %bb.33:
	v_add_nc_u32_e32 v0, 0x99, v255
	v_mov_b32_e32 v34, 0
	s_delay_alu instid0(VALU_DEP_2) | instskip(NEXT) | instid1(VALU_DEP_1)
	v_mul_lo_u32 v0, s12, v0
	v_add3_u32 v33, s0, v57, v0
	s_delay_alu instid0(VALU_DEP_1) | instskip(NEXT) | instid1(VALU_DEP_1)
	v_lshlrev_b64 v[33:34], 4, v[33:34]
	v_add_co_u32 v33, vcc_lo, s2, v33
	s_delay_alu instid0(VALU_DEP_2)
	v_add_co_ci_u32_e32 v34, vcc_lo, s3, v34, vcc_lo
	global_load_b128 v[33:36], v[33:34], off
.LBB0_34:
	s_or_b32 exec_lo, exec_lo, s6
	v_mov_b32_e32 v43, 0
	v_mov_b32_e32 v44, 0
	s_delay_alu instid0(VALU_DEP_1)
	v_dual_mov_b32 v48, v44 :: v_dual_mov_b32 v47, v43
	v_dual_mov_b32 v46, v44 :: v_dual_mov_b32 v45, v43
	s_and_saveexec_b32 s6, s33
	s_cbranch_execz .LBB0_36
; %bb.35:
	v_add_nc_u32_e32 v0, 0xaa, v255
	v_mov_b32_e32 v42, 0
	s_delay_alu instid0(VALU_DEP_2) | instskip(NEXT) | instid1(VALU_DEP_1)
	v_mul_lo_u32 v0, s12, v0
	v_add3_u32 v41, s0, v57, v0
	s_delay_alu instid0(VALU_DEP_1) | instskip(NEXT) | instid1(VALU_DEP_1)
	v_lshlrev_b64 v[41:42], 4, v[41:42]
	v_add_co_u32 v41, vcc_lo, s2, v41
	s_delay_alu instid0(VALU_DEP_2)
	v_add_co_ci_u32_e32 v42, vcc_lo, s3, v42, vcc_lo
	global_load_b128 v[45:48], v[41:42], off
.LBB0_36:
	;; [unrolled: 38-line block ×3, first 2 shown]
	s_or_b32 exec_lo, exec_lo, s6
	v_dual_mov_b32 v49, v51 :: v_dual_mov_b32 v50, v52
	s_and_saveexec_b32 s6, s33
	s_cbranch_execz .LBB0_42
; %bb.41:
	v_add_nc_u32_e32 v0, 0xdd, v255
	v_mov_b32_e32 v50, 0
	s_delay_alu instid0(VALU_DEP_2) | instskip(NEXT) | instid1(VALU_DEP_1)
	v_mul_lo_u32 v0, s12, v0
	v_add3_u32 v49, s0, v57, v0
	s_delay_alu instid0(VALU_DEP_1) | instskip(NEXT) | instid1(VALU_DEP_1)
	v_lshlrev_b64 v[49:50], 4, v[49:50]
	v_add_co_u32 v49, vcc_lo, s2, v49
	s_delay_alu instid0(VALU_DEP_2)
	v_add_co_ci_u32_e32 v50, vcc_lo, s3, v50, vcc_lo
	global_load_b128 v[49:52], v[49:50], off
.LBB0_42:
	s_or_b32 exec_lo, exec_lo, s6
	v_mov_b32_e32 v59, 0
	v_mov_b32_e32 v60, 0
	scratch_store_b64 off, v[57:58], off    ; 8-byte Folded Spill
	v_dual_mov_b32 v64, v60 :: v_dual_mov_b32 v63, v59
	v_dual_mov_b32 v62, v60 :: v_dual_mov_b32 v61, v59
	s_and_saveexec_b32 s6, s33
	s_cbranch_execz .LBB0_44
; %bb.43:
	scratch_load_b64 v[61:62], off, off     ; 8-byte Folded Reload
	v_add_nc_u32_e32 v0, 0xee, v255
	v_mov_b32_e32 v58, 0
	s_delay_alu instid0(VALU_DEP_2) | instskip(SKIP_1) | instid1(VALU_DEP_1)
	v_mul_lo_u32 v0, s12, v0
	s_waitcnt vmcnt(0)
	v_add3_u32 v57, s0, v61, v0
	s_delay_alu instid0(VALU_DEP_1) | instskip(NEXT) | instid1(VALU_DEP_1)
	v_lshlrev_b64 v[57:58], 4, v[57:58]
	v_add_co_u32 v57, vcc_lo, s2, v57
	s_delay_alu instid0(VALU_DEP_2)
	v_add_co_ci_u32_e32 v58, vcc_lo, s3, v58, vcc_lo
	global_load_b128 v[61:64], v[57:58], off
.LBB0_44:
	s_or_b32 exec_lo, exec_lo, s6
	v_dual_mov_b32 v57, v59 :: v_dual_mov_b32 v58, v60
	s_and_saveexec_b32 s6, s33
	s_cbranch_execz .LBB0_46
; %bb.45:
	scratch_load_b64 v[59:60], off, off     ; 8-byte Folded Reload
	v_add_nc_u32_e32 v0, 0xff, v255
	v_mov_b32_e32 v58, 0
	s_delay_alu instid0(VALU_DEP_2) | instskip(SKIP_1) | instid1(VALU_DEP_1)
	v_mul_lo_u32 v0, s12, v0
	s_waitcnt vmcnt(0)
	v_add3_u32 v57, s0, v59, v0
	s_delay_alu instid0(VALU_DEP_1) | instskip(NEXT) | instid1(VALU_DEP_1)
	v_lshlrev_b64 v[57:58], 4, v[57:58]
	v_add_co_u32 v57, vcc_lo, s2, v57
	s_delay_alu instid0(VALU_DEP_2)
	v_add_co_ci_u32_e32 v58, vcc_lo, s3, v58, vcc_lo
	global_load_b128 v[57:60], v[57:58], off
.LBB0_46:
	s_or_b32 exec_lo, exec_lo, s6
	v_mov_b32_e32 v67, 0
	v_mov_b32_e32 v68, 0
	s_delay_alu instid0(VALU_DEP_1)
	v_dual_mov_b32 v65, v67 :: v_dual_mov_b32 v66, v68
	s_and_saveexec_b32 s6, s33
	s_cbranch_execz .LBB0_48
; %bb.47:
	scratch_load_b64 v[67:68], off, off     ; 8-byte Folded Reload
	v_add_nc_u32_e32 v0, 0x110, v255
	v_mov_b32_e32 v66, 0
	s_delay_alu instid0(VALU_DEP_2) | instskip(SKIP_1) | instid1(VALU_DEP_1)
	v_mul_lo_u32 v0, s12, v0
	s_waitcnt vmcnt(0)
	v_add3_u32 v65, s0, v67, v0
	s_delay_alu instid0(VALU_DEP_1) | instskip(NEXT) | instid1(VALU_DEP_1)
	v_lshlrev_b64 v[65:66], 4, v[65:66]
	v_add_co_u32 v65, vcc_lo, s2, v65
	s_delay_alu instid0(VALU_DEP_2)
	v_add_co_ci_u32_e32 v66, vcc_lo, s3, v66, vcc_lo
	global_load_b128 v[65:68], v[65:66], off
.LBB0_48:
	s_or_b32 exec_lo, exec_lo, s6
	s_waitcnt vmcnt(0)
	v_add_f64 v[72:73], v[1:2], v[5:6]
	v_add_f64 v[74:75], v[3:4], v[7:8]
	;; [unrolled: 1-line block ×3, first 2 shown]
	v_add_f64 v[128:129], v[37:38], -v[33:34]
	v_add_f64 v[138:139], v[25:26], v[41:42]
	v_add_f64 v[136:137], v[25:26], -v[41:42]
	v_add_f64 v[134:135], v[29:30], v[45:46]
	;; [unrolled: 2-line block ×6, first 2 shown]
	v_add_f64 v[178:179], v[9:10], -v[57:58]
	s_mov_b32 s6, 0x370991
	s_mov_b32 s18, 0x75d4884
	s_mov_b32 s28, 0x2b2883cd
	s_mov_b32 s14, 0x3259b75e
	s_mov_b32 s20, 0xc61f0d01
	s_mov_b32 s30, 0x6ed5f1bb
	s_mov_b32 s10, 0x910ea3b9
	s_mov_b32 s26, 0x7faef3
	s_mov_b32 s7, 0x3fedd6d0
	s_mov_b32 s19, 0x3fe7a5f6
	s_mov_b32 s29, 0x3fdc86fa
	s_mov_b32 s15, 0x3fb79ee6
	s_mov_b32 s21, 0xbfd183b1
	s_mov_b32 s31, 0xbfe348c8
	s_mov_b32 s11, 0xbfeb34fa
	s_mov_b32 s27, 0xbfef7484
	s_mov_b32 s48, 0x5d8e7cdc
	s_mov_b32 s16, 0x2a9d6da3
	s_mov_b32 s50, 0x7c9e640b
	s_mov_b32 s56, 0xeb564b22
	s_mov_b32 s36, 0x923c349f
	s_mov_b32 s54, 0x6c9a05f6
	v_add_f64 v[72:73], v[72:73], v[9:10]
	v_add_f64 v[74:75], v[74:75], v[11:12]
	s_mov_b32 s52, 0x4363dd80
	s_mov_b32 s40, 0xacd6c6b4
	;; [unrolled: 1-line block ×26, first 2 shown]
	v_mul_f64 v[112:113], v[142:143], s[10:11]
	v_mul_f64 v[114:115], v[140:141], s[52:53]
	;; [unrolled: 1-line block ×10, first 2 shown]
	v_add_f64 v[72:73], v[72:73], v[13:14]
	v_add_f64 v[74:75], v[74:75], v[15:16]
	v_mul_f64 v[160:161], v[142:143], s[18:19]
	v_mul_f64 v[162:163], v[140:141], s[16:17]
	;; [unrolled: 1-line block ×28, first 2 shown]
	v_add_f64 v[72:73], v[72:73], v[17:18]
	v_add_f64 v[74:75], v[74:75], v[19:20]
	s_delay_alu instid0(VALU_DEP_2) | instskip(NEXT) | instid1(VALU_DEP_2)
	v_add_f64 v[72:73], v[72:73], v[21:22]
	v_add_f64 v[74:75], v[74:75], v[23:24]
	s_delay_alu instid0(VALU_DEP_2) | instskip(NEXT) | instid1(VALU_DEP_2)
	v_add_f64 v[72:73], v[72:73], v[25:26]
	v_add_f64 v[74:75], v[74:75], v[27:28]
	v_add_f64 v[25:26], v[27:28], -v[43:44]
	s_delay_alu instid0(VALU_DEP_3) | instskip(NEXT) | instid1(VALU_DEP_3)
	v_add_f64 v[72:73], v[72:73], v[29:30]
	v_add_f64 v[76:77], v[74:75], v[31:32]
	v_add_f64 v[29:30], v[31:32], -v[47:48]
	s_delay_alu instid0(VALU_DEP_3) | instskip(NEXT) | instid1(VALU_DEP_3)
	v_add_f64 v[74:75], v[72:73], v[37:38]
	v_add_f64 v[76:77], v[76:77], v[39:40]
	;; [unrolled: 1-line block ×3, first 2 shown]
	v_add_f64 v[37:38], v[39:40], -v[35:36]
	s_delay_alu instid0(VALU_DEP_4) | instskip(NEXT) | instid1(VALU_DEP_4)
	v_add_f64 v[39:40], v[74:75], v[33:34]
	v_add_f64 v[35:36], v[76:77], v[35:36]
	;; [unrolled: 1-line block ×7, first 2 shown]
	v_add_f64 v[45:46], v[15:16], -v[63:64]
	v_add_f64 v[47:48], v[11:12], v[59:60]
	s_delay_alu instid0(VALU_DEP_4) | instskip(NEXT) | instid1(VALU_DEP_4)
	v_add_f64 v[39:40], v[39:40], v[41:42]
	v_add_f64 v[41:42], v[35:36], v[43:44]
	v_add_f64 v[35:36], v[23:24], -v[55:56]
	v_add_f64 v[43:44], v[15:16], v[63:64]
	s_delay_alu instid0(VALU_DEP_4) | instskip(NEXT) | instid1(VALU_DEP_4)
	v_add_f64 v[21:22], v[39:40], v[53:54]
	v_add_f64 v[23:24], v[41:42], v[55:56]
	;; [unrolled: 1-line block ×3, first 2 shown]
	v_add_f64 v[41:42], v[19:20], -v[51:52]
	s_delay_alu instid0(VALU_DEP_4) | instskip(NEXT) | instid1(VALU_DEP_4)
	v_add_f64 v[17:18], v[21:22], v[49:50]
	v_add_f64 v[19:20], v[23:24], v[51:52]
	v_add_f64 v[49:50], v[11:12], -v[59:60]
	s_delay_alu instid0(VALU_DEP_3) | instskip(NEXT) | instid1(VALU_DEP_3)
	v_add_f64 v[13:14], v[17:18], v[61:62]
	v_add_f64 v[15:16], v[19:20], v[63:64]
	v_add_f64 v[17:18], v[5:6], -v[65:66]
	v_add_f64 v[19:20], v[7:8], -v[67:68]
	s_delay_alu instid0(VALU_DEP_4) | instskip(NEXT) | instid1(VALU_DEP_4)
	v_add_f64 v[9:10], v[13:14], v[57:58]
	v_add_f64 v[11:12], v[15:16], v[59:60]
	;; [unrolled: 1-line block ×4, first 2 shown]
	v_mul_f64 v[84:85], v[17:18], s[46:47]
	v_mul_f64 v[86:87], v[17:18], s[38:39]
	;; [unrolled: 1-line block ×3, first 2 shown]
	v_add_f64 v[184:185], v[9:10], v[65:66]
	v_add_f64 v[186:187], v[11:12], v[67:68]
	v_mul_f64 v[9:10], v[13:14], s[6:7]
	v_mul_f64 v[11:12], v[13:14], s[18:19]
	;; [unrolled: 1-line block ×8, first 2 shown]
	v_fma_f64 v[104:105], v[15:16], s[20:21], v[84:85]
	v_fma_f64 v[84:85], v[15:16], s[20:21], -v[84:85]
	v_fma_f64 v[106:107], v[15:16], s[30:31], v[86:87]
	v_fma_f64 v[86:87], v[15:16], s[30:31], -v[86:87]
	;; [unrolled: 2-line block ×3, first 2 shown]
	v_fma_f64 v[57:58], v[19:20], s[48:49], v[9:10]
	v_fma_f64 v[9:10], v[19:20], s[8:9], v[9:10]
	;; [unrolled: 1-line block ×16, first 2 shown]
	v_mul_f64 v[19:20], v[17:18], s[8:9]
	v_mul_f64 v[51:52], v[17:18], s[44:45]
	;; [unrolled: 1-line block ×5, first 2 shown]
	v_add_f64 v[191:192], v[3:4], v[104:105]
	v_add_f64 v[195:196], v[3:4], v[106:107]
	;; [unrolled: 1-line block ×5, first 2 shown]
	v_mul_f64 v[86:87], v[132:133], s[24:25]
	v_mul_f64 v[88:89], v[130:131], s[26:27]
	v_mul_f64 v[104:105], v[174:175], s[30:31]
	v_mul_f64 v[106:107], v[172:173], s[38:39]
	v_mul_f64 v[108:109], v[152:153], s[26:27]
	v_add_f64 v[5:6], v[1:2], v[9:10]
	v_add_f64 v[9:10], v[1:2], v[59:60]
	;; [unrolled: 1-line block ×8, first 2 shown]
	v_mul_f64 v[82:83], v[136:137], s[38:39]
	v_fma_f64 v[90:91], v[15:16], s[6:7], v[19:20]
	v_fma_f64 v[19:20], v[15:16], s[6:7], -v[19:20]
	v_fma_f64 v[94:95], v[15:16], s[18:19], -v[51:52]
	;; [unrolled: 1-line block ×4, first 2 shown]
	v_fma_f64 v[92:93], v[15:16], s[18:19], v[51:52]
	v_fma_f64 v[96:97], v[15:16], s[28:29], v[53:54]
	;; [unrolled: 1-line block ×4, first 2 shown]
	v_fma_f64 v[15:16], v[15:16], s[26:27], -v[17:18]
	v_add_f64 v[17:18], v[1:2], v[57:58]
	v_mul_f64 v[74:75], v[152:153], s[20:21]
	scratch_store_b64 off, v[5:6], off offset:24 ; 8-byte Folded Spill
	v_add_f64 v[90:91], v[3:4], v[90:91]
	v_add_f64 v[5:6], v[3:4], v[19:20]
	;; [unrolled: 1-line block ×6, first 2 shown]
	v_mul_f64 v[100:101], v[180:181], s[14:15]
	v_mul_f64 v[110:111], v[148:149], s[42:43]
	scratch_store_b64 off, v[5:6], off offset:40 ; 8-byte Folded Spill
	v_add_f64 v[5:6], v[1:2], v[11:12]
	scratch_store_b64 off, v[5:6], off offset:72 ; 8-byte Folded Spill
	v_add_f64 v[5:6], v[3:4], v[94:95]
	;; [unrolled: 2-line block ×3, first 2 shown]
	v_add_f64 v[21:22], v[1:2], v[63:64]
	scratch_store_b64 off, v[5:6], off offset:176 ; 8-byte Folded Spill
	v_add_f64 v[5:6], v[3:4], v[98:99]
	scratch_store_b64 off, v[5:6], off offset:168 ; 8-byte Folded Spill
	v_add_f64 v[5:6], v[1:2], v[23:24]
	v_add_f64 v[23:24], v[1:2], v[65:66]
	scratch_store_b64 off, v[5:6], off offset:192 ; 8-byte Folded Spill
	v_add_f64 v[5:6], v[3:4], v[102:103]
	v_mul_f64 v[102:103], v[178:179], s[22:23]
	scratch_store_b64 off, v[5:6], off offset:184 ; 8-byte Folded Spill
	v_add_f64 v[5:6], v[1:2], v[67:68]
	v_add_f64 v[0:1], v[1:2], v[13:14]
	v_fma_f64 v[13:14], v[45:46], s[54:55], v[104:105]
	v_mul_f64 v[67:68], v[172:173], s[40:41]
	s_clause 0x1
	scratch_store_b64 off, v[5:6], off offset:208
	scratch_store_b64 off, v[0:1], off offset:224
	v_add_f64 v[5:6], v[3:4], v[84:85]
	v_add_f64 v[0:1], v[3:4], v[15:16]
	v_mul_f64 v[3:4], v[178:179], s[44:45]
	v_mul_f64 v[84:85], v[134:135], s[10:11]
	s_clause 0x1
	scratch_store_b64 off, v[5:6], off offset:200
	scratch_store_b64 off, v[0:1], off offset:216
	v_mul_f64 v[0:1], v[180:181], s[18:19]
	v_mul_f64 v[5:6], v[174:175], s[28:29]
	scratch_store_b64 off, v[3:4], off offset:104 ; 8-byte Folded Spill
	v_fma_f64 v[3:4], v[47:48], s[18:19], v[3:4]
	scratch_store_b64 off, v[0:1], off offset:88 ; 8-byte Folded Spill
	v_fma_f64 v[1:2], v[49:50], s[16:17], v[0:1]
	;; [unrolled: 2-line block ×3, first 2 shown]
	v_mul_f64 v[5:6], v[172:173], s[34:35]
	v_add_f64 v[3:4], v[3:4], v[90:91]
	v_mul_f64 v[90:91], v[128:129], s[42:43]
	v_add_f64 v[1:2], v[1:2], v[17:18]
	scratch_store_b64 off, v[5:6], off offset:120 ; 8-byte Folded Spill
	v_add_f64 v[1:2], v[11:12], v[1:2]
	v_fma_f64 v[11:12], v[43:44], s[28:29], v[5:6]
	v_mul_f64 v[5:6], v[152:153], s[14:15]
	s_delay_alu instid0(VALU_DEP_2) | instskip(SKIP_3) | instid1(VALU_DEP_2)
	v_add_f64 v[3:4], v[11:12], v[3:4]
	scratch_store_b64 off, v[5:6], off offset:128 ; 8-byte Folded Spill
	v_fma_f64 v[11:12], v[41:42], s[56:57], v[5:6]
	v_mul_f64 v[5:6], v[148:149], s[22:23]
	v_add_f64 v[1:2], v[11:12], v[1:2]
	scratch_store_b64 off, v[5:6], off offset:136 ; 8-byte Folded Spill
	v_fma_f64 v[11:12], v[39:40], s[14:15], v[5:6]
	v_mul_f64 v[5:6], v[142:143], s[20:21]
	s_delay_alu instid0(VALU_DEP_2) | instskip(SKIP_3) | instid1(VALU_DEP_2)
	v_add_f64 v[3:4], v[11:12], v[3:4]
	scratch_store_b64 off, v[5:6], off offset:144 ; 8-byte Folded Spill
	v_fma_f64 v[11:12], v[35:36], s[36:37], v[5:6]
	v_mul_f64 v[5:6], v[140:141], s[46:47]
	v_add_f64 v[1:2], v[11:12], v[1:2]
	scratch_store_b64 off, v[5:6], off offset:152 ; 8-byte Folded Spill
	v_fma_f64 v[11:12], v[27:28], s[20:21], v[5:6]
	v_mul_f64 v[5:6], v[138:139], s[30:31]
	s_delay_alu instid0(VALU_DEP_2) | instskip(NEXT) | instid1(VALU_DEP_2)
	v_add_f64 v[3:4], v[11:12], v[3:4]
	v_fma_f64 v[11:12], v[25:26], s[54:55], v[5:6]
	scratch_store_b64 off, v[5:6], off offset:160 ; 8-byte Folded Spill
	v_mul_f64 v[6:7], v[140:141], s[42:43]
	v_add_f64 v[1:2], v[11:12], v[1:2]
	v_fma_f64 v[11:12], v[31:32], s[30:31], v[82:83]
	s_delay_alu instid0(VALU_DEP_1) | instskip(SKIP_1) | instid1(VALU_DEP_1)
	v_add_f64 v[3:4], v[11:12], v[3:4]
	v_fma_f64 v[11:12], v[29:30], s[52:53], v[84:85]
	v_add_f64 v[1:2], v[11:12], v[1:2]
	v_fma_f64 v[11:12], v[33:34], s[10:11], v[86:87]
	s_delay_alu instid0(VALU_DEP_1) | instskip(SKIP_1) | instid1(VALU_DEP_1)
	v_add_f64 v[3:4], v[11:12], v[3:4]
	v_fma_f64 v[11:12], v[37:38], s[40:41], v[88:89]
	v_add_f64 v[63:64], v[11:12], v[1:2]
	v_fma_f64 v[11:12], v[72:73], s[26:27], v[90:91]
	v_mul_f64 v[0:1], v[172:173], s[8:9]
	s_delay_alu instid0(VALU_DEP_2) | instskip(SKIP_2) | instid1(VALU_DEP_2)
	v_add_f64 v[65:66], v[11:12], v[3:4]
	v_fma_f64 v[11:12], v[49:50], s[56:57], v[100:101]
	v_mul_f64 v[4:5], v[142:143], s[26:27]
	v_add_f64 v[9:10], v[11:12], v[9:10]
	v_fma_f64 v[11:12], v[47:48], s[14:15], v[102:103]
	s_delay_alu instid0(VALU_DEP_3) | instskip(SKIP_1) | instid1(VALU_DEP_4)
	v_fma_f64 v[2:3], v[35:36], s[40:41], v[4:5]
	v_fma_f64 v[4:5], v[35:36], s[42:43], v[4:5]
	v_add_f64 v[9:10], v[13:14], v[9:10]
	s_delay_alu instid0(VALU_DEP_4) | instskip(SKIP_2) | instid1(VALU_DEP_2)
	v_add_f64 v[11:12], v[11:12], v[19:20]
	v_fma_f64 v[13:14], v[43:44], s[30:31], v[106:107]
	v_fma_f64 v[19:20], v[47:48], s[26:27], v[219:220]
	v_add_f64 v[11:12], v[13:14], v[11:12]
	v_fma_f64 v[13:14], v[41:42], s[40:41], v[108:109]
	s_delay_alu instid0(VALU_DEP_3) | instskip(SKIP_1) | instid1(VALU_DEP_3)
	v_add_f64 v[19:20], v[19:20], v[189:190]
	v_fma_f64 v[189:190], v[45:46], s[44:45], v[249:250]
	v_add_f64 v[9:10], v[13:14], v[9:10]
	v_fma_f64 v[13:14], v[39:40], s[26:27], v[110:111]
	s_delay_alu instid0(VALU_DEP_1) | instskip(SKIP_1) | instid1(VALU_DEP_1)
	v_add_f64 v[11:12], v[13:14], v[11:12]
	v_fma_f64 v[13:14], v[35:36], s[24:25], v[112:113]
	v_add_f64 v[9:10], v[13:14], v[9:10]
	v_fma_f64 v[13:14], v[27:28], s[10:11], v[114:115]
	s_delay_alu instid0(VALU_DEP_1) | instskip(SKIP_1) | instid1(VALU_DEP_1)
	;; [unrolled: 5-line block ×4, first 2 shown]
	v_add_f64 v[11:12], v[13:14], v[11:12]
	v_fma_f64 v[13:14], v[37:38], s[8:9], v[124:125]
	v_add_f64 v[154:155], v[13:14], v[9:10]
	v_fma_f64 v[13:14], v[72:73], s[6:7], v[126:127]
	v_mul_f64 v[8:9], v[138:139], s[14:15]
	s_delay_alu instid0(VALU_DEP_2) | instskip(SKIP_2) | instid1(VALU_DEP_2)
	v_add_f64 v[156:157], v[13:14], v[11:12]
	v_fma_f64 v[13:14], v[49:50], s[54:55], v[144:145]
	v_mul_f64 v[10:11], v[136:137], s[56:57]
	v_add_f64 v[13:14], v[13:14], v[146:147]
	v_mul_f64 v[146:147], v[178:179], s[38:39]
	s_delay_alu instid0(VALU_DEP_1) | instskip(NEXT) | instid1(VALU_DEP_1)
	v_fma_f64 v[15:16], v[47:48], s[30:31], v[146:147]
	v_add_f64 v[15:16], v[15:16], v[150:151]
	v_mul_f64 v[150:151], v[174:175], s[26:27]
	s_delay_alu instid0(VALU_DEP_1) | instskip(NEXT) | instid1(VALU_DEP_1)
	v_fma_f64 v[17:18], v[45:46], s[42:43], v[150:151]
	v_add_f64 v[13:14], v[17:18], v[13:14]
	v_fma_f64 v[17:18], v[43:44], s[26:27], v[67:68]
	s_delay_alu instid0(VALU_DEP_1) | instskip(SKIP_1) | instid1(VALU_DEP_1)
	v_add_f64 v[15:16], v[17:18], v[15:16]
	v_fma_f64 v[17:18], v[41:42], s[46:47], v[74:75]
	v_add_f64 v[13:14], v[17:18], v[13:14]
	v_fma_f64 v[17:18], v[39:40], s[20:21], v[158:159]
	s_delay_alu instid0(VALU_DEP_1) | instskip(SKIP_1) | instid1(VALU_DEP_1)
	v_add_f64 v[15:16], v[17:18], v[15:16]
	;; [unrolled: 5-line block ×5, first 2 shown]
	v_fma_f64 v[17:18], v[37:38], s[52:53], v[176:177]
	v_add_f64 v[59:60], v[17:18], v[13:14]
	v_fma_f64 v[17:18], v[72:73], s[10:11], v[182:183]
	v_mul_f64 v[12:13], v[134:135], s[6:7]
	s_delay_alu instid0(VALU_DEP_2) | instskip(SKIP_1) | instid1(VALU_DEP_1)
	v_add_f64 v[61:62], v[17:18], v[15:16]
	v_fma_f64 v[17:18], v[49:50], s[40:41], v[217:218]
	v_add_f64 v[17:18], v[17:18], v[21:22]
	v_fma_f64 v[21:22], v[45:46], s[46:47], v[221:222]
	s_delay_alu instid0(VALU_DEP_1) | instskip(SKIP_1) | instid1(VALU_DEP_1)
	v_add_f64 v[17:18], v[21:22], v[17:18]
	v_fma_f64 v[21:22], v[43:44], s[20:21], v[223:224]
	v_add_f64 v[19:20], v[21:22], v[19:20]
	v_fma_f64 v[21:22], v[41:42], s[8:9], v[225:226]
	s_delay_alu instid0(VALU_DEP_1) | instskip(SKIP_1) | instid1(VALU_DEP_1)
	;; [unrolled: 5-line block ×5, first 2 shown]
	v_add_f64 v[17:18], v[21:22], v[17:18]
	v_fma_f64 v[21:22], v[33:34], s[30:31], v[239:240]
	v_add_f64 v[19:20], v[21:22], v[19:20]
	v_fma_f64 v[21:22], v[37:38], s[44:45], v[241:242]
	s_delay_alu instid0(VALU_DEP_1) | instskip(SKIP_2) | instid1(VALU_DEP_2)
	v_add_f64 v[55:56], v[21:22], v[17:18]
	v_fma_f64 v[21:22], v[72:73], s[18:19], v[243:244]
	v_mul_f64 v[16:17], v[130:131], s[30:31]
	v_add_f64 v[57:58], v[21:22], v[19:20]
	v_fma_f64 v[21:22], v[49:50], s[24:25], v[245:246]
	s_delay_alu instid0(VALU_DEP_3) | instskip(NEXT) | instid1(VALU_DEP_2)
	v_fma_f64 v[18:19], v[37:38], s[54:55], v[16:17]
	v_add_f64 v[21:22], v[21:22], v[23:24]
	v_fma_f64 v[23:24], v[47:48], s[10:11], v[247:248]
	s_delay_alu instid0(VALU_DEP_2) | instskip(NEXT) | instid1(VALU_DEP_2)
	v_add_f64 v[21:22], v[189:190], v[21:22]
	v_add_f64 v[23:24], v[23:24], v[191:192]
	v_fma_f64 v[189:190], v[43:44], s[18:19], v[251:252]
	s_delay_alu instid0(VALU_DEP_1) | instskip(SKIP_1) | instid1(VALU_DEP_1)
	v_add_f64 v[23:24], v[189:190], v[23:24]
	v_fma_f64 v[189:190], v[41:42], s[50:51], v[253:254]
	v_add_f64 v[21:22], v[189:190], v[21:22]
	v_fma_f64 v[189:190], v[39:40], s[28:29], v[69:70]
	v_fma_f64 v[69:70], v[39:40], s[28:29], -v[69:70]
	s_delay_alu instid0(VALU_DEP_3) | instskip(NEXT) | instid1(VALU_DEP_3)
	v_add_f64 v[2:3], v[2:3], v[21:22]
	v_add_f64 v[23:24], v[189:190], v[23:24]
	v_fma_f64 v[21:22], v[27:28], s[26:27], v[6:7]
	s_delay_alu instid0(VALU_DEP_1) | instskip(SKIP_1) | instid1(VALU_DEP_1)
	v_add_f64 v[21:22], v[21:22], v[23:24]
	v_fma_f64 v[23:24], v[25:26], s[22:23], v[8:9]
	v_add_f64 v[2:3], v[23:24], v[2:3]
	v_fma_f64 v[23:24], v[31:32], s[14:15], v[10:11]
	s_delay_alu instid0(VALU_DEP_1) | instskip(SKIP_1) | instid1(VALU_DEP_1)
	v_add_f64 v[21:22], v[23:24], v[21:22]
	v_fma_f64 v[23:24], v[29:30], s[48:49], v[12:13]
	v_add_f64 v[2:3], v[23:24], v[2:3]
	v_mul_f64 v[23:24], v[132:133], s[8:9]
	s_delay_alu instid0(VALU_DEP_2) | instskip(NEXT) | instid1(VALU_DEP_2)
	v_add_f64 v[51:52], v[18:19], v[2:3]
	v_fma_f64 v[14:15], v[33:34], s[6:7], v[23:24]
	v_mul_f64 v[2:3], v[128:129], s[38:39]
	s_delay_alu instid0(VALU_DEP_2) | instskip(NEXT) | instid1(VALU_DEP_2)
	v_add_f64 v[14:15], v[14:15], v[21:22]
	v_fma_f64 v[18:19], v[72:73], s[30:31], v[2:3]
	v_fma_f64 v[20:21], v[43:44], s[6:7], v[0:1]
	v_fma_f64 v[0:1], v[43:44], s[6:7], -v[0:1]
	v_fma_f64 v[2:3], v[72:73], s[30:31], -v[2:3]
	s_delay_alu instid0(VALU_DEP_4) | instskip(SKIP_1) | instid1(VALU_DEP_1)
	v_add_f64 v[53:54], v[18:19], v[14:15]
	v_mul_f64 v[14:15], v[180:181], s[20:21]
	v_fma_f64 v[18:19], v[49:50], s[46:47], v[14:15]
	v_fma_f64 v[14:15], v[49:50], s[36:37], v[14:15]
	s_delay_alu instid0(VALU_DEP_2) | instskip(SKIP_1) | instid1(VALU_DEP_3)
	v_add_f64 v[18:19], v[18:19], v[193:194]
	v_mul_f64 v[193:194], v[178:179], s[36:37]
	v_add_f64 v[14:15], v[14:15], v[197:198]
	s_delay_alu instid0(VALU_DEP_2) | instskip(NEXT) | instid1(VALU_DEP_1)
	v_fma_f64 v[189:190], v[47:48], s[20:21], v[193:194]
	v_add_f64 v[189:190], v[189:190], v[195:196]
	v_mul_f64 v[195:196], v[174:175], s[6:7]
	s_delay_alu instid0(VALU_DEP_2) | instskip(NEXT) | instid1(VALU_DEP_2)
	v_add_f64 v[20:21], v[20:21], v[189:190]
	v_fma_f64 v[191:192], v[45:46], s[48:49], v[195:196]
	v_mul_f64 v[188:189], v[152:153], s[10:11]
	s_delay_alu instid0(VALU_DEP_2) | instskip(NEXT) | instid1(VALU_DEP_2)
	v_add_f64 v[18:19], v[191:192], v[18:19]
	v_fma_f64 v[190:191], v[41:42], s[52:53], v[188:189]
	s_delay_alu instid0(VALU_DEP_1) | instskip(SKIP_1) | instid1(VALU_DEP_1)
	v_add_f64 v[18:19], v[190:191], v[18:19]
	v_mul_f64 v[190:191], v[148:149], s[24:25]
	v_fma_f64 v[98:99], v[39:40], s[10:11], v[190:191]
	s_delay_alu instid0(VALU_DEP_1) | instskip(SKIP_1) | instid1(VALU_DEP_1)
	v_add_f64 v[20:21], v[98:99], v[20:21]
	v_mul_f64 v[98:99], v[142:143], s[14:15]
	;; [unrolled: 4-line block ×7, first 2 shown]
	v_fma_f64 v[213:214], v[33:34], s[26:27], v[76:77]
	v_fma_f64 v[76:77], v[33:34], s[26:27], -v[76:77]
	s_delay_alu instid0(VALU_DEP_2) | instskip(SKIP_1) | instid1(VALU_DEP_1)
	v_add_f64 v[20:21], v[213:214], v[20:21]
	v_mul_f64 v[213:214], v[130:131], s[28:29]
	v_fma_f64 v[78:79], v[37:38], s[34:35], v[213:214]
	s_delay_alu instid0(VALU_DEP_1) | instskip(SKIP_1) | instid1(VALU_DEP_1)
	v_add_f64 v[18:19], v[78:79], v[18:19]
	v_mul_f64 v[78:79], v[128:129], s[50:51]
	v_fma_f64 v[80:81], v[72:73], s[28:29], v[78:79]
	v_fma_f64 v[78:79], v[72:73], s[28:29], -v[78:79]
	s_delay_alu instid0(VALU_DEP_2) | instskip(SKIP_2) | instid1(VALU_DEP_2)
	v_add_f64 v[20:21], v[80:81], v[20:21]
	v_fma_f64 v[80:81], v[47:48], s[20:21], -v[193:194]
	v_fma_f64 v[192:193], v[45:46], s[8:9], v[195:196]
	v_add_f64 v[80:81], v[80:81], v[199:200]
	s_delay_alu instid0(VALU_DEP_2) | instskip(NEXT) | instid1(VALU_DEP_2)
	v_add_f64 v[14:15], v[192:193], v[14:15]
	v_add_f64 v[0:1], v[0:1], v[80:81]
	v_fma_f64 v[80:81], v[41:42], s[24:25], v[188:189]
	s_delay_alu instid0(VALU_DEP_1) | instskip(SKIP_1) | instid1(VALU_DEP_1)
	v_add_f64 v[14:15], v[80:81], v[14:15]
	v_fma_f64 v[80:81], v[39:40], s[10:11], -v[190:191]
	v_add_f64 v[0:1], v[80:81], v[0:1]
	v_fma_f64 v[80:81], v[35:36], s[56:57], v[98:99]
	s_delay_alu instid0(VALU_DEP_1) | instskip(SKIP_1) | instid1(VALU_DEP_1)
	v_add_f64 v[14:15], v[80:81], v[14:15]
	v_fma_f64 v[80:81], v[27:28], s[14:15], -v[96:97]
	v_add_f64 v[0:1], v[80:81], v[0:1]
	v_fma_f64 v[80:81], v[25:26], s[44:45], v[94:95]
	s_delay_alu instid0(VALU_DEP_1) | instskip(SKIP_2) | instid1(VALU_DEP_2)
	v_add_f64 v[14:15], v[80:81], v[14:15]
	v_fma_f64 v[80:81], v[31:32], s[18:19], -v[215:216]
	v_mul_f64 v[215:216], v[130:131], s[20:21]
	v_add_f64 v[0:1], v[80:81], v[0:1]
	v_fma_f64 v[80:81], v[29:30], s[42:43], v[92:93]
	s_delay_alu instid0(VALU_DEP_2) | instskip(NEXT) | instid1(VALU_DEP_2)
	v_add_f64 v[0:1], v[76:77], v[0:1]
	v_add_f64 v[14:15], v[80:81], v[14:15]
	v_fma_f64 v[76:77], v[37:38], s[50:51], v[213:214]
	v_mul_f64 v[80:81], v[174:175], s[14:15]
	v_mul_f64 v[213:214], v[132:133], s[16:17]
	;; [unrolled: 1-line block ×3, first 2 shown]
	v_add_f64 v[195:196], v[78:79], v[0:1]
	v_mul_f64 v[0:1], v[180:181], s[28:29]
	v_add_f64 v[193:194], v[76:77], v[14:15]
	v_mul_f64 v[76:77], v[178:179], s[50:51]
	v_fma_f64 v[92:93], v[45:46], s[56:57], v[80:81]
	s_delay_alu instid0(VALU_DEP_4) | instskip(SKIP_1) | instid1(VALU_DEP_4)
	v_fma_f64 v[14:15], v[49:50], s[34:35], v[0:1]
	v_fma_f64 v[0:1], v[49:50], s[50:51], v[0:1]
	;; [unrolled: 1-line block ×3, first 2 shown]
	v_fma_f64 v[76:77], v[47:48], s[28:29], -v[76:77]
	s_delay_alu instid0(VALU_DEP_4) | instskip(SKIP_1) | instid1(VALU_DEP_4)
	v_add_f64 v[14:15], v[14:15], v[201:202]
	v_mul_f64 v[201:202], v[136:137], s[42:43]
	v_add_f64 v[78:79], v[78:79], v[203:204]
	v_mul_f64 v[203:204], v[134:135], s[18:19]
	v_add_f64 v[0:1], v[0:1], v[205:206]
	v_add_f64 v[76:77], v[76:77], v[207:208]
	v_mul_f64 v[136:137], v[136:137], s[50:51]
	v_mul_f64 v[134:135], v[134:135], s[20:21]
	v_add_f64 v[14:15], v[92:93], v[14:15]
	v_mul_f64 v[92:93], v[172:173], s[22:23]
	s_delay_alu instid0(VALU_DEP_1) | instskip(NEXT) | instid1(VALU_DEP_1)
	v_fma_f64 v[94:95], v[43:44], s[14:15], v[92:93]
	v_add_f64 v[78:79], v[94:95], v[78:79]
	v_mul_f64 v[94:95], v[152:153], s[30:31]
	s_delay_alu instid0(VALU_DEP_1) | instskip(NEXT) | instid1(VALU_DEP_1)
	v_fma_f64 v[96:97], v[41:42], s[38:39], v[94:95]
	v_add_f64 v[14:15], v[96:97], v[14:15]
	v_mul_f64 v[96:97], v[148:149], s[54:55]
	s_delay_alu instid0(VALU_DEP_1) | instskip(NEXT) | instid1(VALU_DEP_1)
	v_fma_f64 v[98:99], v[39:40], s[30:31], v[96:97]
	v_add_f64 v[78:79], v[98:99], v[78:79]
	v_mul_f64 v[98:99], v[142:143], s[6:7]
	s_delay_alu instid0(VALU_DEP_1) | instskip(NEXT) | instid1(VALU_DEP_1)
	v_fma_f64 v[188:189], v[35:36], s[48:49], v[98:99]
	v_add_f64 v[14:15], v[188:189], v[14:15]
	v_mul_f64 v[188:189], v[140:141], s[8:9]
	v_mul_f64 v[140:141], v[140:141], s[38:39]
	s_delay_alu instid0(VALU_DEP_2) | instskip(NEXT) | instid1(VALU_DEP_1)
	v_fma_f64 v[190:191], v[27:28], s[6:7], v[188:189]
	v_add_f64 v[78:79], v[190:191], v[78:79]
	v_mul_f64 v[190:191], v[138:139], s[26:27]
	v_mul_f64 v[138:139], v[138:139], s[28:29]
	s_delay_alu instid0(VALU_DEP_2) | instskip(NEXT) | instid1(VALU_DEP_1)
	v_fma_f64 v[197:198], v[25:26], s[40:41], v[190:191]
	v_add_f64 v[14:15], v[197:198], v[14:15]
	v_fma_f64 v[197:198], v[31:32], s[26:27], v[201:202]
	s_delay_alu instid0(VALU_DEP_1) | instskip(SKIP_1) | instid1(VALU_DEP_1)
	v_add_f64 v[78:79], v[197:198], v[78:79]
	v_fma_f64 v[197:198], v[29:30], s[44:45], v[203:204]
	v_add_f64 v[14:15], v[197:198], v[14:15]
	v_fma_f64 v[197:198], v[33:34], s[18:19], v[213:214]
	s_delay_alu instid0(VALU_DEP_1) | instskip(SKIP_1) | instid1(VALU_DEP_1)
	v_add_f64 v[78:79], v[197:198], v[78:79]
	v_fma_f64 v[197:198], v[37:38], s[36:37], v[215:216]
	v_add_f64 v[197:198], v[197:198], v[14:15]
	v_mul_f64 v[14:15], v[128:129], s[46:47]
	s_delay_alu instid0(VALU_DEP_1) | instskip(SKIP_1) | instid1(VALU_DEP_2)
	v_fma_f64 v[199:200], v[72:73], s[20:21], v[14:15]
	v_fma_f64 v[14:15], v[72:73], s[20:21], -v[14:15]
	v_add_f64 v[199:200], v[199:200], v[78:79]
	v_fma_f64 v[78:79], v[45:46], s[22:23], v[80:81]
	v_mul_f64 v[80:81], v[174:175], s[10:11]
	s_delay_alu instid0(VALU_DEP_2) | instskip(SKIP_1) | instid1(VALU_DEP_3)
	v_add_f64 v[0:1], v[78:79], v[0:1]
	v_fma_f64 v[78:79], v[43:44], s[14:15], -v[92:93]
	v_fma_f64 v[92:93], v[45:46], s[52:53], v[80:81]
	s_delay_alu instid0(VALU_DEP_2) | instskip(SKIP_1) | instid1(VALU_DEP_1)
	v_add_f64 v[76:77], v[78:79], v[76:77]
	v_fma_f64 v[78:79], v[41:42], s[54:55], v[94:95]
	v_add_f64 v[0:1], v[78:79], v[0:1]
	v_fma_f64 v[78:79], v[39:40], s[30:31], -v[96:97]
	s_delay_alu instid0(VALU_DEP_1) | instskip(SKIP_1) | instid1(VALU_DEP_1)
	v_add_f64 v[76:77], v[78:79], v[76:77]
	v_fma_f64 v[78:79], v[35:36], s[8:9], v[98:99]
	v_add_f64 v[0:1], v[78:79], v[0:1]
	v_fma_f64 v[78:79], v[27:28], s[6:7], -v[188:189]
	s_delay_alu instid0(VALU_DEP_1) | instskip(SKIP_1) | instid1(VALU_DEP_1)
	;; [unrolled: 5-line block ×3, first 2 shown]
	v_add_f64 v[76:77], v[78:79], v[76:77]
	v_fma_f64 v[78:79], v[29:30], s[16:17], v[203:204]
	v_add_f64 v[0:1], v[78:79], v[0:1]
	v_fma_f64 v[78:79], v[33:34], s[18:19], -v[213:214]
	s_delay_alu instid0(VALU_DEP_1) | instskip(SKIP_1) | instid1(VALU_DEP_2)
	v_add_f64 v[76:77], v[78:79], v[76:77]
	v_fma_f64 v[78:79], v[37:38], s[46:47], v[215:216]
	v_add_f64 v[203:204], v[14:15], v[76:77]
	s_delay_alu instid0(VALU_DEP_2) | instskip(SKIP_2) | instid1(VALU_DEP_2)
	v_add_f64 v[201:202], v[78:79], v[0:1]
	v_mul_f64 v[0:1], v[180:181], s[6:7]
	v_mul_f64 v[76:77], v[178:179], s[48:49]
	v_fma_f64 v[14:15], v[49:50], s[8:9], v[0:1]
	s_delay_alu instid0(VALU_DEP_2) | instskip(SKIP_1) | instid1(VALU_DEP_3)
	v_fma_f64 v[78:79], v[47:48], s[6:7], v[76:77]
	v_fma_f64 v[0:1], v[49:50], s[48:49], v[0:1]
	v_add_f64 v[14:15], v[14:15], v[209:210]
	s_delay_alu instid0(VALU_DEP_3) | instskip(NEXT) | instid1(VALU_DEP_2)
	v_add_f64 v[78:79], v[78:79], v[211:212]
	v_add_f64 v[14:15], v[92:93], v[14:15]
	v_mul_f64 v[92:93], v[172:173], s[24:25]
	s_delay_alu instid0(VALU_DEP_1) | instskip(NEXT) | instid1(VALU_DEP_1)
	v_fma_f64 v[94:95], v[43:44], s[10:11], v[92:93]
	v_add_f64 v[78:79], v[94:95], v[78:79]
	v_mul_f64 v[94:95], v[152:153], s[18:19]
	s_delay_alu instid0(VALU_DEP_1) | instskip(NEXT) | instid1(VALU_DEP_1)
	v_fma_f64 v[96:97], v[41:42], s[44:45], v[94:95]
	v_add_f64 v[14:15], v[96:97], v[14:15]
	v_mul_f64 v[96:97], v[148:149], s[16:17]
	v_mul_f64 v[148:149], v[128:129], s[56:57]
	s_delay_alu instid0(VALU_DEP_2) | instskip(NEXT) | instid1(VALU_DEP_1)
	v_fma_f64 v[98:99], v[39:40], s[18:19], v[96:97]
	v_add_f64 v[78:79], v[98:99], v[78:79]
	v_mul_f64 v[98:99], v[142:143], s[30:31]
	s_delay_alu instid0(VALU_DEP_1) | instskip(NEXT) | instid1(VALU_DEP_1)
	v_fma_f64 v[142:143], v[35:36], s[54:55], v[98:99]
	v_add_f64 v[14:15], v[142:143], v[14:15]
	v_fma_f64 v[142:143], v[27:28], s[30:31], v[140:141]
	s_delay_alu instid0(VALU_DEP_1) | instskip(SKIP_1) | instid1(VALU_DEP_1)
	v_add_f64 v[78:79], v[142:143], v[78:79]
	v_fma_f64 v[142:143], v[25:26], s[34:35], v[138:139]
	v_add_f64 v[14:15], v[142:143], v[14:15]
	v_fma_f64 v[142:143], v[31:32], s[28:29], v[136:137]
	s_delay_alu instid0(VALU_DEP_1) | instskip(SKIP_1) | instid1(VALU_DEP_1)
	v_add_f64 v[78:79], v[142:143], v[78:79]
	;; [unrolled: 5-line block ×3, first 2 shown]
	v_mul_f64 v[142:143], v[130:131], s[14:15]
	v_fma_f64 v[128:129], v[37:38], s[22:23], v[142:143]
	s_delay_alu instid0(VALU_DEP_1) | instskip(SKIP_1) | instid1(VALU_DEP_1)
	v_add_f64 v[128:129], v[128:129], v[14:15]
	v_fma_f64 v[14:15], v[72:73], s[14:15], v[148:149]
	v_add_f64 v[130:131], v[14:15], v[78:79]
	scratch_load_b64 v[14:15], off, off offset:224 ; 8-byte Folded Reload
	v_fma_f64 v[78:79], v[72:73], s[14:15], -v[148:149]
	s_waitcnt vmcnt(0)
	v_add_f64 v[0:1], v[0:1], v[14:15]
	v_fma_f64 v[14:15], v[47:48], s[6:7], -v[76:77]
	scratch_load_b64 v[76:77], off, off offset:216 ; 8-byte Folded Reload
	s_waitcnt vmcnt(0)
	v_add_f64 v[14:15], v[14:15], v[76:77]
	v_fma_f64 v[76:77], v[45:46], s[24:25], v[80:81]
	s_delay_alu instid0(VALU_DEP_1) | instskip(SKIP_1) | instid1(VALU_DEP_1)
	v_add_f64 v[0:1], v[76:77], v[0:1]
	v_fma_f64 v[76:77], v[43:44], s[10:11], -v[92:93]
	v_add_f64 v[14:15], v[76:77], v[14:15]
	v_fma_f64 v[76:77], v[41:42], s[16:17], v[94:95]
	s_delay_alu instid0(VALU_DEP_1) | instskip(SKIP_1) | instid1(VALU_DEP_1)
	v_add_f64 v[0:1], v[76:77], v[0:1]
	v_fma_f64 v[76:77], v[39:40], s[18:19], -v[96:97]
	;; [unrolled: 5-line block ×5, first 2 shown]
	v_add_f64 v[14:15], v[76:77], v[14:15]
	v_fma_f64 v[76:77], v[37:38], s[56:57], v[142:143]
	s_delay_alu instid0(VALU_DEP_2)
	v_add_f64 v[134:135], v[78:79], v[14:15]
	scratch_load_b64 v[14:15], off, off offset:208 ; 8-byte Folded Reload
	v_add_f64 v[132:133], v[76:77], v[0:1]
	scratch_load_b64 v[76:77], off, off offset:200 ; 8-byte Folded Reload
	v_fma_f64 v[0:1], v[49:50], s[52:53], v[245:246]
	s_waitcnt vmcnt(1)
	s_delay_alu instid0(VALU_DEP_1) | instskip(SKIP_2) | instid1(VALU_DEP_1)
	v_add_f64 v[0:1], v[0:1], v[14:15]
	v_fma_f64 v[14:15], v[47:48], s[10:11], -v[247:248]
	s_waitcnt vmcnt(0)
	v_add_f64 v[14:15], v[14:15], v[76:77]
	v_fma_f64 v[76:77], v[45:46], s[16:17], v[249:250]
	s_delay_alu instid0(VALU_DEP_1) | instskip(SKIP_1) | instid1(VALU_DEP_1)
	v_add_f64 v[0:1], v[76:77], v[0:1]
	v_fma_f64 v[76:77], v[43:44], s[18:19], -v[251:252]
	v_add_f64 v[14:15], v[76:77], v[14:15]
	v_fma_f64 v[76:77], v[41:42], s[34:35], v[253:254]
	s_delay_alu instid0(VALU_DEP_2) | instskip(NEXT) | instid1(VALU_DEP_2)
	v_add_f64 v[14:15], v[69:70], v[14:15]
	v_add_f64 v[0:1], v[76:77], v[0:1]
	s_delay_alu instid0(VALU_DEP_1) | instskip(SKIP_2) | instid1(VALU_DEP_2)
	v_add_f64 v[0:1], v[4:5], v[0:1]
	v_fma_f64 v[4:5], v[27:28], s[26:27], -v[6:7]
	v_fma_f64 v[6:7], v[25:26], s[56:57], v[8:9]
	v_add_f64 v[4:5], v[4:5], v[14:15]
	s_delay_alu instid0(VALU_DEP_2) | instskip(SKIP_1) | instid1(VALU_DEP_1)
	v_add_f64 v[0:1], v[6:7], v[0:1]
	v_fma_f64 v[6:7], v[31:32], s[14:15], -v[10:11]
	v_add_f64 v[4:5], v[6:7], v[4:5]
	v_fma_f64 v[6:7], v[29:30], s[8:9], v[12:13]
	s_delay_alu instid0(VALU_DEP_1) | instskip(SKIP_1) | instid1(VALU_DEP_1)
	v_add_f64 v[0:1], v[6:7], v[0:1]
	v_fma_f64 v[6:7], v[33:34], s[6:7], -v[23:24]
	v_add_f64 v[4:5], v[6:7], v[4:5]
	v_fma_f64 v[6:7], v[37:38], s[38:39], v[16:17]
	s_delay_alu instid0(VALU_DEP_2)
	v_add_f64 v[138:139], v[2:3], v[4:5]
	s_clause 0x1
	scratch_load_b64 v[2:3], off, off offset:192
	scratch_load_b64 v[4:5], off, off offset:184
	v_add_f64 v[136:137], v[6:7], v[0:1]
	v_fma_f64 v[0:1], v[49:50], s[42:43], v[217:218]
	v_fma_f64 v[6:7], v[72:73], s[18:19], -v[243:244]
	s_waitcnt vmcnt(1)
	s_delay_alu instid0(VALU_DEP_2) | instskip(SKIP_2) | instid1(VALU_DEP_1)
	v_add_f64 v[0:1], v[0:1], v[2:3]
	v_fma_f64 v[2:3], v[47:48], s[26:27], -v[219:220]
	s_waitcnt vmcnt(0)
	v_add_f64 v[2:3], v[2:3], v[4:5]
	v_fma_f64 v[4:5], v[45:46], s[36:37], v[221:222]
	s_delay_alu instid0(VALU_DEP_1) | instskip(SKIP_1) | instid1(VALU_DEP_1)
	v_add_f64 v[0:1], v[4:5], v[0:1]
	v_fma_f64 v[4:5], v[43:44], s[20:21], -v[223:224]
	v_add_f64 v[2:3], v[4:5], v[2:3]
	v_fma_f64 v[4:5], v[41:42], s[48:49], v[225:226]
	s_delay_alu instid0(VALU_DEP_1) | instskip(SKIP_1) | instid1(VALU_DEP_1)
	v_add_f64 v[0:1], v[4:5], v[0:1]
	v_fma_f64 v[4:5], v[39:40], s[6:7], -v[227:228]
	;; [unrolled: 5-line block ×5, first 2 shown]
	v_add_f64 v[2:3], v[4:5], v[2:3]
	v_fma_f64 v[4:5], v[37:38], s[16:17], v[241:242]
	s_delay_alu instid0(VALU_DEP_2)
	v_add_f64 v[98:99], v[6:7], v[2:3]
	scratch_load_b64 v[2:3], off, off offset:176 ; 8-byte Folded Reload
	v_add_f64 v[96:97], v[4:5], v[0:1]
	scratch_load_b64 v[4:5], off, off offset:168 ; 8-byte Folded Reload
	v_fma_f64 v[0:1], v[49:50], s[38:39], v[144:145]
	v_fma_f64 v[6:7], v[72:73], s[10:11], -v[182:183]
	s_waitcnt vmcnt(1)
	s_delay_alu instid0(VALU_DEP_2) | instskip(SKIP_2) | instid1(VALU_DEP_1)
	v_add_f64 v[0:1], v[0:1], v[2:3]
	v_fma_f64 v[2:3], v[47:48], s[30:31], -v[146:147]
	s_waitcnt vmcnt(0)
	v_add_f64 v[2:3], v[2:3], v[4:5]
	v_fma_f64 v[4:5], v[45:46], s[40:41], v[150:151]
	s_delay_alu instid0(VALU_DEP_1) | instskip(SKIP_1) | instid1(VALU_DEP_1)
	v_add_f64 v[0:1], v[4:5], v[0:1]
	v_fma_f64 v[4:5], v[43:44], s[26:27], -v[67:68]
	v_add_f64 v[2:3], v[4:5], v[2:3]
	v_fma_f64 v[4:5], v[41:42], s[36:37], v[74:75]
	s_delay_alu instid0(VALU_DEP_1) | instskip(SKIP_1) | instid1(VALU_DEP_1)
	v_add_f64 v[0:1], v[4:5], v[0:1]
	v_fma_f64 v[4:5], v[39:40], s[20:21], -v[158:159]
	;; [unrolled: 5-line block ×5, first 2 shown]
	v_add_f64 v[2:3], v[4:5], v[2:3]
	v_fma_f64 v[4:5], v[37:38], s[24:25], v[176:177]
	s_delay_alu instid0(VALU_DEP_2)
	v_add_f64 v[94:95], v[6:7], v[2:3]
	scratch_load_b64 v[2:3], off, off offset:72 ; 8-byte Folded Reload
	v_add_f64 v[92:93], v[4:5], v[0:1]
	scratch_load_b64 v[4:5], off, off offset:56 ; 8-byte Folded Reload
	v_fma_f64 v[0:1], v[49:50], s[22:23], v[100:101]
	v_fma_f64 v[6:7], v[72:73], s[6:7], -v[126:127]
	s_waitcnt vmcnt(1)
	s_delay_alu instid0(VALU_DEP_2) | instskip(SKIP_2) | instid1(VALU_DEP_1)
	v_add_f64 v[0:1], v[0:1], v[2:3]
	v_fma_f64 v[2:3], v[47:48], s[14:15], -v[102:103]
	s_waitcnt vmcnt(0)
	v_add_f64 v[2:3], v[2:3], v[4:5]
	v_fma_f64 v[4:5], v[45:46], s[38:39], v[104:105]
	s_delay_alu instid0(VALU_DEP_1) | instskip(SKIP_1) | instid1(VALU_DEP_1)
	v_add_f64 v[0:1], v[4:5], v[0:1]
	v_fma_f64 v[4:5], v[43:44], s[30:31], -v[106:107]
	v_add_f64 v[2:3], v[4:5], v[2:3]
	v_fma_f64 v[4:5], v[41:42], s[42:43], v[108:109]
	s_delay_alu instid0(VALU_DEP_1) | instskip(SKIP_1) | instid1(VALU_DEP_1)
	v_add_f64 v[0:1], v[4:5], v[0:1]
	v_fma_f64 v[4:5], v[39:40], s[26:27], -v[110:111]
	;; [unrolled: 5-line block ×5, first 2 shown]
	v_add_f64 v[2:3], v[4:5], v[2:3]
	v_fma_f64 v[4:5], v[37:38], s[48:49], v[124:125]
	s_delay_alu instid0(VALU_DEP_2) | instskip(NEXT) | instid1(VALU_DEP_2)
	v_add_f64 v[102:103], v[6:7], v[2:3]
	v_add_f64 v[100:101], v[4:5], v[0:1]
	s_clause 0x3
	scratch_load_b64 v[0:1], off, off offset:88
	scratch_load_b64 v[4:5], off, off offset:24
	;; [unrolled: 1-line block ×4, first 2 shown]
	s_waitcnt vmcnt(3)
	v_fma_f64 v[0:1], v[49:50], s[44:45], v[0:1]
	s_waitcnt vmcnt(2)
	s_delay_alu instid0(VALU_DEP_1) | instskip(SKIP_4) | instid1(VALU_DEP_1)
	v_add_f64 v[0:1], v[0:1], v[4:5]
	scratch_load_b64 v[4:5], off, off offset:40 ; 8-byte Folded Reload
	s_waitcnt vmcnt(2)
	v_fma_f64 v[2:3], v[47:48], s[18:19], -v[2:3]
	s_waitcnt vmcnt(0)
	v_add_f64 v[2:3], v[2:3], v[4:5]
	scratch_load_b64 v[4:5], off, off offset:112 ; 8-byte Folded Reload
	s_waitcnt vmcnt(0)
	v_fma_f64 v[4:5], v[45:46], s[34:35], v[4:5]
	s_delay_alu instid0(VALU_DEP_1) | instskip(SKIP_3) | instid1(VALU_DEP_1)
	v_add_f64 v[0:1], v[4:5], v[0:1]
	scratch_load_b64 v[4:5], off, off offset:128 ; 8-byte Folded Reload
	s_waitcnt vmcnt(0)
	v_fma_f64 v[4:5], v[41:42], s[22:23], v[4:5]
	v_add_f64 v[0:1], v[4:5], v[0:1]
	scratch_load_b64 v[4:5], off, off offset:144 ; 8-byte Folded Reload
	s_waitcnt vmcnt(0)
	v_fma_f64 v[4:5], v[35:36], s[46:47], v[4:5]
	s_delay_alu instid0(VALU_DEP_1) | instskip(SKIP_3) | instid1(VALU_DEP_1)
	v_add_f64 v[0:1], v[4:5], v[0:1]
	scratch_load_b64 v[4:5], off, off offset:160 ; 8-byte Folded Reload
	s_waitcnt vmcnt(0)
	v_fma_f64 v[4:5], v[25:26], s[38:39], v[4:5]
	v_add_f64 v[0:1], v[4:5], v[0:1]
	v_fma_f64 v[4:5], v[29:30], s[24:25], v[84:85]
	s_delay_alu instid0(VALU_DEP_1) | instskip(SKIP_1) | instid1(VALU_DEP_1)
	v_add_f64 v[0:1], v[4:5], v[0:1]
	v_fma_f64 v[4:5], v[37:38], s[42:43], v[88:89]
	v_add_f64 v[25:26], v[4:5], v[0:1]
	scratch_load_b32 v0, off, off offset:8  ; 4-byte Folded Reload
	v_fma_f64 v[6:7], v[43:44], s[28:29], -v[6:7]
	s_delay_alu instid0(VALU_DEP_1)
	v_add_f64 v[2:3], v[6:7], v[2:3]
	scratch_load_b64 v[6:7], off, off offset:136 ; 8-byte Folded Reload
	s_waitcnt vmcnt(1)
	v_lshlrev_b32_e32 v37, 4, v0
	s_waitcnt vmcnt(0)
	v_fma_f64 v[6:7], v[39:40], s[14:15], -v[6:7]
	s_delay_alu instid0(VALU_DEP_1) | instskip(SKIP_3) | instid1(VALU_DEP_1)
	v_add_f64 v[2:3], v[6:7], v[2:3]
	scratch_load_b64 v[6:7], off, off offset:152 ; 8-byte Folded Reload
	s_waitcnt vmcnt(0)
	v_fma_f64 v[6:7], v[27:28], s[20:21], -v[6:7]
	v_add_f64 v[2:3], v[6:7], v[2:3]
	v_fma_f64 v[6:7], v[31:32], s[30:31], -v[82:83]
	s_delay_alu instid0(VALU_DEP_1) | instskip(SKIP_1) | instid1(VALU_DEP_1)
	v_add_f64 v[2:3], v[6:7], v[2:3]
	v_fma_f64 v[6:7], v[33:34], s[10:11], -v[86:87]
	v_add_f64 v[2:3], v[6:7], v[2:3]
	v_fma_f64 v[6:7], v[72:73], s[26:27], -v[90:91]
	v_mov_b32_e32 v91, v255
	s_delay_alu instid0(VALU_DEP_1) | instskip(NEXT) | instid1(VALU_DEP_1)
	v_mul_u32_u24_e32 v0, 0x770, v91
	v_add3_u32 v0, 0, v0, v37
	s_delay_alu instid0(VALU_DEP_4)
	v_add_f64 v[27:28], v[6:7], v[2:3]
	ds_store_b128 v0, v[184:187]
	ds_store_b128 v0, v[63:66] offset:112
	ds_store_b128 v0, v[154:157] offset:224
	;; [unrolled: 1-line block ×16, first 2 shown]
	s_waitcnt lgkmcnt(0)
	s_waitcnt_vscnt null, 0x0
	s_barrier
	buffer_gl0_inv
	s_and_saveexec_b32 s58, s33
	s_cbranch_execz .LBB0_50
; %bb.49:
	v_mul_hi_u32 v0, 0xf0f0f10, v91
	s_add_i32 s33, 0, 0x7e70
	v_mul_lo_u32 v38, 0xffffffef, v71
	s_lshl_b64 s[0:1], s[0:1], 4
	s_delay_alu instid0(SALU_CYCLE_1) | instskip(SKIP_1) | instid1(VALU_DEP_2)
	s_add_u32 s0, s2, s0
	s_addc_u32 s1, s3, s1
	v_mul_u32_u24_e32 v0, 17, v0
	s_delay_alu instid0(VALU_DEP_1) | instskip(NEXT) | instid1(VALU_DEP_1)
	v_sub_nc_u32_e32 v255, v91, v0
	v_mul_lo_u32 v1, v255, v71
	v_add_nc_u32_e32 v0, 0x110, v255
	s_delay_alu instid0(VALU_DEP_1) | instskip(NEXT) | instid1(VALU_DEP_3)
	v_mul_lo_u32 v2, v0, v71
	v_lshrrev_b32_e32 v0, 1, v1
	v_and_b32_e32 v5, 31, v1
	s_delay_alu instid0(VALU_DEP_2) | instskip(NEXT) | instid1(VALU_DEP_2)
	v_and_b32_e32 v0, 0x1f0, v0
	v_lshl_add_u32 v5, v5, 4, 0
	v_lshrrev_b32_e32 v4, 1, v2
	v_and_b32_e32 v3, 31, v2
	s_delay_alu instid0(VALU_DEP_4) | instskip(SKIP_1) | instid1(VALU_DEP_4)
	v_add_nc_u32_e32 v6, s33, v0
	v_lshrrev_b32_e32 v0, 6, v1
	v_and_b32_e32 v4, 0x1f0, v4
	s_delay_alu instid0(VALU_DEP_4)
	v_lshl_add_u32 v1, v3, 4, 0
	ds_load_b128 v[17:20], v5 offset:32368
	ds_load_b128 v[13:16], v6 offset:512
	v_and_b32_e32 v0, 0x1f0, v0
	v_add_nc_u32_e32 v3, s33, v4
	v_add_nc_u32_e32 v4, v2, v38
	ds_load_b128 v[21:24], v1 offset:32368
	ds_load_b128 v[25:28], v3 offset:512
	v_lshrrev_b32_e32 v2, 6, v2
	v_lshrrev_b32_e32 v1, 1, v4
	;; [unrolled: 1-line block ×3, first 2 shown]
	v_and_b32_e32 v3, 31, v4
	v_add_nc_u32_e32 v0, s33, v0
	v_and_b32_e32 v2, 0x1f0, v2
	v_and_b32_e32 v1, 0x1f0, v1
	;; [unrolled: 1-line block ×3, first 2 shown]
	v_lshl_add_u32 v3, v3, 4, 0
	ds_load_b128 v[225:228], v0 offset:1024
	v_add_nc_u32_e32 v2, s33, v2
	v_add_nc_u32_e32 v4, v4, v38
	s_waitcnt lgkmcnt(3)
	v_mul_f64 v[47:48], v[19:20], v[15:16]
	v_mul_f64 v[15:16], v[17:18], v[15:16]
	ds_load_b128 v[5:8], v2 offset:1024
	v_add_nc_u32_e32 v0, s33, v1
	v_add_nc_u32_e32 v1, s33, v9
	ds_load_b128 v[29:32], v3 offset:32368
	ds_load_b128 v[33:36], v0 offset:512
	;; [unrolled: 1-line block ×3, first 2 shown]
	s_waitcnt lgkmcnt(5)
	v_mul_f64 v[49:50], v[23:24], v[27:28]
	v_mul_f64 v[27:28], v[21:22], v[27:28]
	v_lshrrev_b32_e32 v0, 1, v4
	v_and_b32_e32 v1, 31, v4
	v_lshrrev_b32_e32 v2, 6, v4
	v_add_nc_u32_e32 v53, v4, v38
	s_delay_alu instid0(VALU_DEP_4) | instskip(NEXT) | instid1(VALU_DEP_4)
	v_and_b32_e32 v0, 0x1f0, v0
	v_lshl_add_u32 v1, v1, 4, 0
	s_delay_alu instid0(VALU_DEP_3) | instskip(NEXT) | instid1(VALU_DEP_3)
	v_lshrrev_b32_e32 v3, 1, v53
	v_add_nc_u32_e32 v0, s33, v0
	ds_load_b128 v[43:46], v1 offset:32368
	v_and_b32_e32 v1, 0x1f0, v2
	v_lshrrev_b32_e32 v2, 6, v53
	v_and_b32_e32 v3, 0x1f0, v3
	ds_load_b128 v[39:42], v0 offset:512
	s_waitcnt lgkmcnt(3)
	v_mul_f64 v[51:52], v[31:32], v[35:36]
	v_mul_f64 v[35:36], v[29:30], v[35:36]
	v_add_nc_u32_e32 v1, s33, v1
	v_and_b32_e32 v2, 0x1f0, v2
	v_add_nc_u32_e32 v4, s33, v3
	v_fma_f64 v[127:128], v[17:18], v[13:14], -v[47:48]
	v_fma_f64 v[63:64], v[19:20], v[13:14], v[15:16]
	ds_load_b128 v[13:16], v1 offset:1024
	v_and_b32_e32 v0, 31, v53
	v_add_nc_u32_e32 v1, s33, v2
	s_waitcnt lgkmcnt(1)
	v_mul_f64 v[47:48], v[45:46], v[41:42]
	s_delay_alu instid0(VALU_DEP_3)
	v_lshl_add_u32 v0, v0, 4, 0
	v_fma_f64 v[2:3], v[21:22], v[25:26], -v[49:50]
	v_fma_f64 v[67:68], v[23:24], v[25:26], v[27:28]
	ds_load_b128 v[21:24], v0 offset:32368
	ds_load_b128 v[25:28], v4 offset:512
	;; [unrolled: 1-line block ×3, first 2 shown]
	v_add_nc_u32_e32 v0, v53, v38
	v_mul_f64 v[41:42], v[43:44], v[41:42]
	s_delay_alu instid0(VALU_DEP_2) | instskip(SKIP_3) | instid1(VALU_DEP_4)
	v_lshrrev_b32_e32 v1, 1, v0
	v_and_b32_e32 v4, 31, v0
	v_add_nc_u32_e32 v17, v0, v38
	v_lshrrev_b32_e32 v0, 6, v0
	v_and_b32_e32 v1, 0x1f0, v1
	s_delay_alu instid0(VALU_DEP_4)
	v_lshl_add_u32 v4, v4, 4, 0
	v_fma_f64 v[71:72], v[29:30], v[33:34], -v[51:52]
	v_fma_f64 v[73:74], v[31:32], v[33:34], v[35:36]
	v_and_b32_e32 v0, 0x1f0, v0
	v_add_nc_u32_e32 v1, s33, v1
	ds_load_b128 v[29:32], v1 offset:512
	ds_load_b128 v[33:36], v4 offset:32368
	s_waitcnt lgkmcnt(3)
	v_mul_f64 v[49:50], v[23:24], v[27:28]
	v_lshrrev_b32_e32 v1, 6, v17
	v_lshrrev_b32_e32 v4, 1, v17
	v_and_b32_e32 v18, 31, v17
	v_add_nc_u32_e32 v0, s33, v0
	v_mul_f64 v[27:28], v[21:22], v[27:28]
	v_and_b32_e32 v1, 0x1f0, v1
	v_and_b32_e32 v4, 0x1f0, v4
	v_lshl_add_u32 v18, v18, 4, 0
	v_fma_f64 v[75:76], v[43:44], v[39:40], -v[47:48]
	s_delay_alu instid0(VALU_DEP_4) | instskip(NEXT) | instid1(VALU_DEP_4)
	v_add_nc_u32_e32 v1, s33, v1
	v_add_nc_u32_e32 v4, s33, v4
	v_fma_f64 v[77:78], v[45:46], v[39:40], v[41:42]
	s_waitcnt lgkmcnt(0)
	v_mul_f64 v[39:40], v[35:36], v[31:32]
	v_mul_f64 v[31:32], v[33:34], v[31:32]
	v_fma_f64 v[79:80], v[21:22], v[25:26], -v[49:50]
	ds_load_b128 v[99:102], v0 offset:1024
	ds_load_b128 v[19:22], v1 offset:1024
	v_fma_f64 v[81:82], v[23:24], v[25:26], v[27:28]
	v_fma_f64 v[83:84], v[33:34], v[29:30], -v[39:40]
	v_fma_f64 v[0:1], v[35:36], v[29:30], v[31:32]
	ds_load_b128 v[29:32], v18 offset:32368
	ds_load_b128 v[33:36], v4 offset:512
	v_add_nc_u32_e32 v4, v17, v38
	s_delay_alu instid0(VALU_DEP_1) | instskip(SKIP_3) | instid1(VALU_DEP_4)
	v_add_nc_u32_e32 v17, v4, v38
	v_lshrrev_b32_e32 v18, 1, v4
	v_lshrrev_b32_e32 v23, 6, v4
	v_and_b32_e32 v4, 31, v4
	v_lshrrev_b32_e32 v24, 6, v17
	s_delay_alu instid0(VALU_DEP_4) | instskip(NEXT) | instid1(VALU_DEP_4)
	v_and_b32_e32 v18, 0x1f0, v18
	v_and_b32_e32 v23, 0x1f0, v23
	s_delay_alu instid0(VALU_DEP_4) | instskip(NEXT) | instid1(VALU_DEP_4)
	v_lshl_add_u32 v4, v4, 4, 0
	v_and_b32_e32 v24, 0x1f0, v24
	s_delay_alu instid0(VALU_DEP_4) | instskip(NEXT) | instid1(VALU_DEP_4)
	v_add_nc_u32_e32 v18, s33, v18
	v_add_nc_u32_e32 v23, s33, v23
	s_waitcnt lgkmcnt(0)
	v_mul_f64 v[39:40], v[31:32], v[35:36]
	v_add_nc_u32_e32 v24, s33, v24
	s_delay_alu instid0(VALU_DEP_2) | instskip(SKIP_1) | instid1(VALU_DEP_1)
	v_fma_f64 v[87:88], v[29:30], v[33:34], -v[39:40]
	v_mul_f64 v[29:30], v[29:30], v[35:36]
	v_fma_f64 v[89:90], v[31:32], v[33:34], v[29:30]
	ds_load_b128 v[39:42], v18 offset:512
	ds_load_b128 v[43:46], v4 offset:32368
	;; [unrolled: 1-line block ×4, first 2 shown]
	v_lshrrev_b32_e32 v4, 1, v17
	v_and_b32_e32 v18, 31, v17
	s_delay_alu instid0(VALU_DEP_2) | instskip(NEXT) | instid1(VALU_DEP_2)
	v_and_b32_e32 v4, 0x1f0, v4
	v_lshl_add_u32 v18, v18, 4, 0
	s_delay_alu instid0(VALU_DEP_2) | instskip(SKIP_3) | instid1(VALU_DEP_2)
	v_add_nc_u32_e32 v4, s33, v4
	s_waitcnt lgkmcnt(2)
	v_mul_f64 v[47:48], v[45:46], v[41:42]
	v_mul_f64 v[41:42], v[43:44], v[41:42]
	v_fma_f64 v[137:138], v[43:44], v[39:40], -v[47:48]
	s_delay_alu instid0(VALU_DEP_2) | instskip(SKIP_3) | instid1(VALU_DEP_1)
	v_fma_f64 v[27:28], v[45:46], v[39:40], v[41:42]
	ds_load_b128 v[39:42], v18 offset:32368
	ds_load_b128 v[43:46], v4 offset:512
	v_add_nc_u32_e32 v4, v17, v38
	v_add_nc_u32_e32 v23, v4, v38
	v_lshrrev_b32_e32 v17, 1, v4
	v_lshrrev_b32_e32 v18, 6, v4
	v_and_b32_e32 v4, 31, v4
	s_delay_alu instid0(VALU_DEP_4) | instskip(NEXT) | instid1(VALU_DEP_4)
	v_lshrrev_b32_e32 v24, 6, v23
	v_and_b32_e32 v17, 0x1f0, v17
	s_delay_alu instid0(VALU_DEP_4) | instskip(NEXT) | instid1(VALU_DEP_4)
	v_and_b32_e32 v18, 0x1f0, v18
	v_lshl_add_u32 v4, v4, 4, 0
	s_delay_alu instid0(VALU_DEP_4) | instskip(NEXT) | instid1(VALU_DEP_4)
	v_and_b32_e32 v24, 0x1f0, v24
	v_add_nc_u32_e32 v17, s33, v17
	s_delay_alu instid0(VALU_DEP_4) | instskip(SKIP_3) | instid1(VALU_DEP_2)
	v_add_nc_u32_e32 v18, s33, v18
	s_waitcnt lgkmcnt(0)
	v_mul_f64 v[47:48], v[41:42], v[45:46]
	v_add_nc_u32_e32 v24, s33, v24
	v_fma_f64 v[95:96], v[39:40], v[43:44], -v[47:48]
	v_mul_f64 v[39:40], v[39:40], v[45:46]
	ds_load_b128 v[49:52], v17 offset:512
	ds_load_b128 v[53:56], v4 offset:32368
	;; [unrolled: 1-line block ×4, first 2 shown]
	v_lshrrev_b32_e32 v4, 1, v23
	v_and_b32_e32 v24, 31, v23
	s_delay_alu instid0(VALU_DEP_2) | instskip(NEXT) | instid1(VALU_DEP_2)
	v_and_b32_e32 v4, 0x1f0, v4
	v_lshl_add_u32 v24, v24, 4, 0
	s_delay_alu instid0(VALU_DEP_2) | instskip(SKIP_3) | instid1(VALU_DEP_1)
	v_add_nc_u32_e32 v4, s33, v4
	v_fma_f64 v[97:98], v[41:42], v[43:44], v[39:40]
	s_waitcnt lgkmcnt(2)
	v_mul_f64 v[39:40], v[55:56], v[51:52]
	v_fma_f64 v[17:18], v[53:54], v[49:50], -v[39:40]
	v_mul_f64 v[39:40], v[53:54], v[51:52]
	s_delay_alu instid0(VALU_DEP_1) | instskip(SKIP_3) | instid1(VALU_DEP_1)
	v_fma_f64 v[65:66], v[55:56], v[49:50], v[39:40]
	ds_load_b128 v[49:52], v24 offset:32368
	ds_load_b128 v[53:56], v4 offset:512
	v_add_nc_u32_e32 v4, v23, v38
	v_add_nc_u32_e32 v41, v4, v38
	v_lshrrev_b32_e32 v23, 1, v4
	v_lshrrev_b32_e32 v24, 6, v4
	v_and_b32_e32 v4, 31, v4
	s_delay_alu instid0(VALU_DEP_4) | instskip(NEXT) | instid1(VALU_DEP_4)
	v_lshrrev_b32_e32 v25, 6, v41
	v_and_b32_e32 v23, 0x1f0, v23
	s_delay_alu instid0(VALU_DEP_4) | instskip(NEXT) | instid1(VALU_DEP_4)
	v_and_b32_e32 v24, 0x1f0, v24
	v_lshl_add_u32 v4, v4, 4, 0
	s_delay_alu instid0(VALU_DEP_4) | instskip(NEXT) | instid1(VALU_DEP_4)
	v_and_b32_e32 v25, 0x1f0, v25
	v_add_nc_u32_e32 v23, s33, v23
	s_delay_alu instid0(VALU_DEP_4) | instskip(SKIP_3) | instid1(VALU_DEP_2)
	v_add_nc_u32_e32 v24, s33, v24
	s_waitcnt lgkmcnt(0)
	v_mul_f64 v[39:40], v[51:52], v[55:56]
	v_add_nc_u32_e32 v25, s33, v25
	v_fma_f64 v[103:104], v[49:50], v[53:54], -v[39:40]
	v_mul_f64 v[39:40], v[49:50], v[55:56]
	s_delay_alu instid0(VALU_DEP_1)
	v_fma_f64 v[43:44], v[51:52], v[53:54], v[39:40]
	ds_load_b128 v[57:60], v23 offset:512
	ds_load_b128 v[109:112], v4 offset:32368
	;; [unrolled: 1-line block ×4, first 2 shown]
	v_lshrrev_b32_e32 v4, 1, v41
	v_and_b32_e32 v25, 31, v41
	s_delay_alu instid0(VALU_DEP_2) | instskip(NEXT) | instid1(VALU_DEP_2)
	v_and_b32_e32 v4, 0x1f0, v4
	v_lshl_add_u32 v25, v25, 4, 0
	s_delay_alu instid0(VALU_DEP_2) | instskip(SKIP_2) | instid1(VALU_DEP_1)
	v_add_nc_u32_e32 v4, s33, v4
	s_waitcnt lgkmcnt(2)
	v_mul_f64 v[39:40], v[111:112], v[59:60]
	v_fma_f64 v[23:24], v[109:110], v[57:58], -v[39:40]
	v_mul_f64 v[39:40], v[109:110], v[59:60]
	s_delay_alu instid0(VALU_DEP_1) | instskip(SKIP_3) | instid1(VALU_DEP_1)
	v_fma_f64 v[85:86], v[111:112], v[57:58], v[39:40]
	ds_load_b128 v[57:60], v25 offset:32368
	ds_load_b128 v[113:116], v4 offset:512
	v_add_nc_u32_e32 v4, v41, v38
	v_lshrrev_b32_e32 v41, 6, v4
	s_waitcnt lgkmcnt(0)
	v_mul_f64 v[39:40], v[59:60], v[115:116]
	s_delay_alu instid0(VALU_DEP_1) | instskip(SKIP_3) | instid1(VALU_DEP_2)
	v_fma_f64 v[105:106], v[57:58], v[113:114], -v[39:40]
	v_mul_f64 v[39:40], v[57:58], v[115:116]
	v_and_b32_e32 v58, 31, v4
	v_and_b32_e32 v57, 0x1f0, v41
	v_lshl_add_u32 v41, v58, 4, 0
	s_delay_alu instid0(VALU_DEP_2) | instskip(SKIP_2) | instid1(VALU_DEP_1)
	v_add_nc_u32_e32 v42, s33, v57
	v_fma_f64 v[25:26], v[59:60], v[113:114], v[39:40]
	v_lshrrev_b32_e32 v39, 1, v4
	v_and_b32_e32 v40, 0x1f0, v39
	v_add_nc_u32_e32 v39, v4, v38
	s_delay_alu instid0(VALU_DEP_2) | instskip(NEXT) | instid1(VALU_DEP_2)
	v_add_nc_u32_e32 v40, s33, v40
	v_lshrrev_b32_e32 v4, 6, v39
	s_delay_alu instid0(VALU_DEP_1) | instskip(NEXT) | instid1(VALU_DEP_1)
	v_and_b32_e32 v4, 0x1f0, v4
	v_add_nc_u32_e32 v4, s33, v4
	ds_load_b128 v[115:118], v40 offset:512
	ds_load_b128 v[119:122], v41 offset:32368
	;; [unrolled: 1-line block ×4, first 2 shown]
	v_add_nc_u32_e32 v4, v39, v38
	s_delay_alu instid0(VALU_DEP_1) | instskip(SKIP_3) | instid1(VALU_DEP_4)
	v_add_nc_u32_e32 v38, v4, v38
	v_lshrrev_b32_e32 v40, 1, v4
	v_lshrrev_b32_e32 v41, 6, v4
	v_and_b32_e32 v4, 31, v4
	v_lshrrev_b32_e32 v42, 6, v38
	s_delay_alu instid0(VALU_DEP_4) | instskip(NEXT) | instid1(VALU_DEP_4)
	v_and_b32_e32 v40, 0x1f0, v40
	v_and_b32_e32 v41, 0x1f0, v41
	s_delay_alu instid0(VALU_DEP_4) | instskip(NEXT) | instid1(VALU_DEP_4)
	v_lshl_add_u32 v4, v4, 4, 0
	v_and_b32_e32 v42, 0x1f0, v42
	s_delay_alu instid0(VALU_DEP_4)
	v_add_nc_u32_e32 v40, s33, v40
	s_waitcnt lgkmcnt(2)
	v_mul_f64 v[69:70], v[121:122], v[117:118]
	v_mul_f64 v[117:118], v[119:120], v[117:118]
	v_add_nc_u32_e32 v41, s33, v41
	v_add_nc_u32_e32 v42, s33, v42
	s_delay_alu instid0(VALU_DEP_4) | instskip(NEXT) | instid1(VALU_DEP_4)
	v_fma_f64 v[69:70], v[119:120], v[115:116], -v[69:70]
	v_fma_f64 v[211:212], v[121:122], v[115:116], v[117:118]
	ds_load_b128 v[115:118], v40 offset:512
	ds_load_b128 v[119:122], v4 offset:32368
	;; [unrolled: 1-line block ×4, first 2 shown]
	v_lshrrev_b32_e32 v4, 1, v38
	v_and_b32_e32 v38, 31, v38
	v_lshlrev_b32_e32 v41, 8, v255
	s_delay_alu instid0(VALU_DEP_3) | instskip(NEXT) | instid1(VALU_DEP_3)
	v_and_b32_e32 v4, 0x1f0, v4
	v_lshl_add_u32 v38, v38, 4, 0
	s_delay_alu instid0(VALU_DEP_2) | instskip(SKIP_3) | instid1(VALU_DEP_2)
	v_add_nc_u32_e32 v4, s33, v4
	s_waitcnt lgkmcnt(2)
	v_mul_f64 v[123:124], v[121:122], v[117:118]
	v_mul_f64 v[117:118], v[119:120], v[117:118]
	v_fma_f64 v[213:214], v[119:120], v[115:116], -v[123:124]
	s_delay_alu instid0(VALU_DEP_2) | instskip(SKIP_4) | instid1(VALU_DEP_2)
	v_fma_f64 v[215:216], v[121:122], v[115:116], v[117:118]
	ds_load_b128 v[115:118], v38 offset:32368
	ds_load_b128 v[119:122], v4 offset:512
	v_lshrrev_b32_e32 v4, 1, v39
	v_and_b32_e32 v38, 31, v39
	v_and_b32_e32 v4, 0x1f0, v4
	s_delay_alu instid0(VALU_DEP_2) | instskip(NEXT) | instid1(VALU_DEP_2)
	v_lshl_add_u32 v38, v38, 4, 0
	v_add_nc_u32_e32 v4, s33, v4
	s_waitcnt lgkmcnt(0)
	v_mul_f64 v[123:124], v[117:118], v[121:122]
	s_delay_alu instid0(VALU_DEP_1) | instskip(SKIP_1) | instid1(VALU_DEP_1)
	v_fma_f64 v[217:218], v[115:116], v[119:120], -v[123:124]
	v_mul_f64 v[115:116], v[115:116], v[121:122]
	v_fma_f64 v[219:220], v[117:118], v[119:120], v[115:116]
	ds_load_b128 v[115:118], v38 offset:32368
	ds_load_b128 v[123:126], v4 offset:512
	v_mul_u32_u24_e32 v4, 0x70, v91
	s_delay_alu instid0(VALU_DEP_1) | instskip(SKIP_2) | instid1(VALU_DEP_1)
	v_add3_u32 v4, 0, v4, v37
	s_waitcnt lgkmcnt(0)
	v_mul_f64 v[38:39], v[117:118], v[125:126]
	v_fma_f64 v[38:39], v[115:116], v[123:124], -v[38:39]
	scratch_store_b64 off, v[38:39], off offset:104 ; 8-byte Folded Spill
	v_mul_f64 v[38:39], v[115:116], v[125:126]
	s_delay_alu instid0(VALU_DEP_1)
	v_fma_f64 v[38:39], v[117:118], v[123:124], v[38:39]
	global_load_b128 v[115:118], v41, s[4:5]
	scratch_store_b64 off, v[38:39], off offset:112 ; 8-byte Folded Spill
	ds_load_b128 v[129:132], v4 offset:1904
	ds_load_b128 v[37:40], v4
	global_load_b128 v[133:136], v41, s[4:5] offset:16
	s_waitcnt vmcnt(1) lgkmcnt(1)
	v_mul_f64 v[119:120], v[129:130], v[117:118]
	v_mul_f64 v[117:118], v[131:132], v[117:118]
	s_delay_alu instid0(VALU_DEP_2) | instskip(NEXT) | instid1(VALU_DEP_2)
	v_fma_f64 v[121:122], v[131:132], v[115:116], v[119:120]
	v_fma_f64 v[125:126], v[129:130], v[115:116], -v[117:118]
	s_clause 0x1
	global_load_b128 v[117:120], v41, s[4:5] offset:240
	global_load_b128 v[139:142], v41, s[4:5] offset:224
	ds_load_b128 v[143:146], v4 offset:30464
	s_waitcnt vmcnt(1) lgkmcnt(0)
	v_mul_f64 v[115:116], v[143:144], v[119:120]
	v_mul_f64 v[119:120], v[145:146], v[119:120]
	s_delay_alu instid0(VALU_DEP_2) | instskip(NEXT) | instid1(VALU_DEP_2)
	v_fma_f64 v[59:60], v[145:146], v[117:118], v[115:116]
	v_fma_f64 v[109:110], v[143:144], v[117:118], -v[119:120]
	ds_load_b128 v[143:146], v4 offset:3808
	ds_load_b128 v[147:150], v4 offset:5712
	s_waitcnt lgkmcnt(1)
	v_mul_f64 v[119:120], v[143:144], v[135:136]
	s_delay_alu instid0(VALU_DEP_1) | instskip(SKIP_1) | instid1(VALU_DEP_1)
	v_fma_f64 v[115:116], v[145:146], v[133:134], v[119:120]
	v_mul_f64 v[119:120], v[145:146], v[135:136]
	v_fma_f64 v[129:130], v[143:144], v[133:134], -v[119:120]
	ds_load_b128 v[133:136], v4 offset:28560
	ds_load_b128 v[151:154], v4 offset:26656
	s_waitcnt vmcnt(0) lgkmcnt(1)
	v_mul_f64 v[119:120], v[133:134], v[141:142]
	v_mul_f64 v[123:124], v[135:136], v[141:142]
	s_delay_alu instid0(VALU_DEP_2) | instskip(NEXT) | instid1(VALU_DEP_2)
	v_fma_f64 v[111:112], v[135:136], v[139:140], v[119:120]
	v_fma_f64 v[113:114], v[133:134], v[139:140], -v[123:124]
	global_load_b128 v[139:142], v41, s[4:5] offset:112
	ds_load_b128 v[143:146], v4 offset:15232
	ds_load_b128 v[155:158], v4 offset:17136
	global_load_b128 v[179:182], v41, s[4:5] offset:96
	s_waitcnt vmcnt(1) lgkmcnt(1)
	v_mul_f64 v[135:136], v[145:146], v[141:142]
	v_mul_f64 v[133:134], v[143:144], v[141:142]
	s_delay_alu instid0(VALU_DEP_2)
	v_fma_f64 v[123:124], v[143:144], v[139:140], -v[135:136]
	s_clause 0x1
	global_load_b128 v[141:144], v41, s[4:5] offset:32
	global_load_b128 v[159:162], v41, s[4:5] offset:48
	v_fma_f64 v[117:118], v[145:146], v[139:140], v[133:134]
	s_waitcnt vmcnt(1)
	v_mul_f64 v[135:136], v[147:148], v[143:144]
	s_delay_alu instid0(VALU_DEP_1) | instskip(SKIP_1) | instid1(VALU_DEP_1)
	v_fma_f64 v[145:146], v[149:150], v[141:142], v[135:136]
	v_mul_f64 v[135:136], v[149:150], v[143:144]
	v_fma_f64 v[149:150], v[147:148], v[141:142], -v[135:136]
	s_clause 0x1
	global_load_b128 v[141:144], v41, s[4:5] offset:208
	global_load_b128 v[163:166], v41, s[4:5] offset:192
	s_waitcnt vmcnt(1)
	v_mul_f64 v[135:136], v[151:152], v[143:144]
	v_mul_f64 v[143:144], v[153:154], v[143:144]
	s_delay_alu instid0(VALU_DEP_2) | instskip(NEXT) | instid1(VALU_DEP_2)
	v_fma_f64 v[119:120], v[153:154], v[141:142], v[135:136]
	v_fma_f64 v[135:136], v[151:152], v[141:142], -v[143:144]
	s_clause 0x1
	global_load_b128 v[151:154], v41, s[4:5] offset:128
	global_load_b128 v[195:198], v41, s[4:5] offset:144
	s_waitcnt vmcnt(1) lgkmcnt(0)
	v_mul_f64 v[143:144], v[155:156], v[153:154]
	v_mul_f64 v[147:148], v[157:158], v[153:154]
	s_delay_alu instid0(VALU_DEP_2) | instskip(NEXT) | instid1(VALU_DEP_2)
	v_fma_f64 v[139:140], v[157:158], v[151:152], v[143:144]
	v_fma_f64 v[141:142], v[155:156], v[151:152], -v[147:148]
	ds_load_b128 v[151:154], v4 offset:7616
	ds_load_b128 v[167:170], v4 offset:9520
	;; [unrolled: 1-line block ×4, first 2 shown]
	s_waitcnt lgkmcnt(3)
	v_mul_f64 v[155:156], v[151:152], v[161:162]
	s_delay_alu instid0(VALU_DEP_1) | instskip(SKIP_1) | instid1(VALU_DEP_1)
	v_fma_f64 v[155:156], v[153:154], v[159:160], v[155:156]
	v_mul_f64 v[153:154], v[153:154], v[161:162]
	v_fma_f64 v[159:160], v[151:152], v[159:160], -v[153:154]
	s_waitcnt lgkmcnt(1)
	v_mul_f64 v[151:152], v[171:172], v[165:166]
	v_mul_f64 v[153:154], v[173:174], v[165:166]
	s_delay_alu instid0(VALU_DEP_2) | instskip(NEXT) | instid1(VALU_DEP_2)
	v_fma_f64 v[143:144], v[173:174], v[163:164], v[151:152]
	v_fma_f64 v[147:148], v[171:172], v[163:164], -v[153:154]
	s_clause 0x1
	global_load_b128 v[171:174], v41, s[4:5] offset:64
	global_load_b128 v[199:202], v41, s[4:5] offset:80
	s_waitcnt vmcnt(1)
	v_mul_f64 v[157:158], v[167:168], v[173:174]
	s_delay_alu instid0(VALU_DEP_1) | instskip(SKIP_1) | instid1(VALU_DEP_1)
	v_fma_f64 v[163:164], v[169:170], v[171:172], v[157:158]
	v_mul_f64 v[157:158], v[169:170], v[173:174]
	v_fma_f64 v[165:166], v[167:168], v[171:172], -v[157:158]
	s_clause 0x1
	global_load_b128 v[167:170], v41, s[4:5] offset:176
	global_load_b128 v[203:206], v41, s[4:5] offset:160
	s_waitcnt vmcnt(1) lgkmcnt(0)
	v_mul_f64 v[157:158], v[175:176], v[169:170]
	v_mul_f64 v[161:162], v[177:178], v[169:170]
	s_delay_alu instid0(VALU_DEP_2) | instskip(NEXT) | instid1(VALU_DEP_2)
	v_fma_f64 v[151:152], v[177:178], v[167:168], v[157:158]
	v_fma_f64 v[153:154], v[175:176], v[167:168], -v[161:162]
	ds_load_b128 v[167:170], v4 offset:11424
	ds_load_b128 v[207:210], v4 offset:13328
	s_waitcnt lgkmcnt(1)
	v_mul_f64 v[171:172], v[167:168], v[201:202]
	s_delay_alu instid0(VALU_DEP_1) | instskip(SKIP_1) | instid1(VALU_DEP_1)
	v_fma_f64 v[241:242], v[169:170], v[199:200], v[171:172]
	v_mul_f64 v[169:170], v[169:170], v[201:202]
	v_fma_f64 v[239:240], v[167:168], v[199:200], -v[169:170]
	ds_load_b128 v[175:178], v4 offset:20944
	ds_load_b128 v[199:202], v4 offset:19040
	s_waitcnt vmcnt(0) lgkmcnt(1)
	v_mul_f64 v[169:170], v[177:178], v[205:206]
	v_mul_f64 v[167:168], v[175:176], v[205:206]
	s_delay_alu instid0(VALU_DEP_2) | instskip(SKIP_1) | instid1(VALU_DEP_3)
	v_fma_f64 v[243:244], v[175:176], v[203:204], -v[169:170]
	v_mul_f64 v[175:176], v[207:208], v[181:182]
	v_fma_f64 v[249:250], v[177:178], v[203:204], v[167:168]
	s_delay_alu instid0(VALU_DEP_2) | instskip(SKIP_1) | instid1(VALU_DEP_1)
	v_fma_f64 v[229:230], v[209:210], v[179:180], v[175:176]
	v_mul_f64 v[175:176], v[209:210], v[181:182]
	v_fma_f64 v[181:182], v[207:208], v[179:180], -v[175:176]
	s_waitcnt lgkmcnt(0)
	v_mul_f64 v[175:176], v[199:200], v[197:198]
	v_mul_f64 v[179:180], v[201:202], v[197:198]
	s_delay_alu instid0(VALU_DEP_2) | instskip(NEXT) | instid1(VALU_DEP_2)
	v_fma_f64 v[231:232], v[201:202], v[195:196], v[175:176]
	v_fma_f64 v[223:224], v[199:200], v[195:196], -v[179:180]
	v_mul_f64 v[195:196], v[67:68], v[7:8]
	v_mul_f64 v[7:8], v[2:3], v[7:8]
	s_delay_alu instid0(VALU_DEP_2) | instskip(NEXT) | instid1(VALU_DEP_2)
	v_fma_f64 v[207:208], v[5:6], v[2:3], -v[195:196]
	v_fma_f64 v[237:238], v[5:6], v[67:68], v[7:8]
	v_mul_f64 v[7:8], v[73:74], v[11:12]
	v_mul_f64 v[2:3], v[81:82], v[235:236]
	v_add_f64 v[67:68], v[129:130], v[113:114]
	s_delay_alu instid0(VALU_DEP_3) | instskip(SKIP_1) | instid1(VALU_DEP_4)
	v_fma_f64 v[209:210], v[9:10], v[71:72], -v[7:8]
	v_mul_f64 v[7:8], v[71:72], v[11:12]
	v_fma_f64 v[91:92], v[233:234], v[79:80], -v[2:3]
	v_mul_f64 v[2:3], v[79:80], v[235:236]
	v_mul_f64 v[11:12], v[27:28], v[31:32]
	v_add_f64 v[71:72], v[149:150], -v[135:136]
	v_add_f64 v[79:80], v[159:160], v[147:148]
	v_fma_f64 v[221:222], v[9:10], v[73:74], v[7:8]
	v_mul_f64 v[7:8], v[77:78], v[15:16]
	v_fma_f64 v[93:94], v[233:234], v[81:82], v[2:3]
	v_mul_f64 v[2:3], v[0:1], v[101:102]
	v_mul_f64 v[9:10], v[137:138], v[31:32]
	v_add_f64 v[31:32], v[115:116], -v[111:112]
	v_fma_f64 v[169:170], v[29:30], v[137:138], -v[11:12]
	v_add_f64 v[73:74], v[149:150], v[135:136]
	v_add_f64 v[81:82], v[165:166], v[153:154]
	v_fma_f64 v[61:62], v[13:14], v[75:76], -v[7:8]
	v_mul_f64 v[7:8], v[75:76], v[15:16]
	v_mul_f64 v[15:16], v[97:98], v[253:254]
	v_fma_f64 v[171:172], v[29:30], v[27:28], v[9:10]
	v_add_f64 v[29:30], v[145:146], -v[119:120]
	v_add_f64 v[27:28], v[155:156], v[143:144]
	v_add_f64 v[75:76], v[159:160], -v[147:148]
	v_fma_f64 v[57:58], v[99:100], v[83:84], -v[2:3]
	v_add_f64 v[10:11], v[241:242], -v[249:250]
	v_mul_f64 v[167:168], v[31:32], s[42:43]
	v_fma_f64 v[41:42], v[13:14], v[77:78], v[7:8]
	v_fma_f64 v[173:174], v[251:252], v[95:96], -v[15:16]
	v_mul_f64 v[15:16], v[17:18], v[47:48]
	v_mul_f64 v[13:14], v[95:96], v[253:254]
	;; [unrolled: 1-line block ×3, first 2 shown]
	v_add_f64 v[77:78], v[165:166], -v[153:154]
	v_add_f64 v[83:84], v[239:240], -v[243:244]
	v_add_f64 v[95:96], v[181:182], v[223:224]
	v_fma_f64 v[197:198], v[67:68], s[26:27], v[167:168]
	v_mul_f64 v[157:158], v[29:30], s[16:17]
	v_fma_f64 v[179:180], v[45:46], v[65:66], v[15:16]
	v_mul_f64 v[15:16], v[65:66], v[47:48]
	v_fma_f64 v[175:176], v[251:252], v[97:98], v[13:14]
	v_fma_f64 v[107:108], v[99:100], v[0:1], v[7:8]
	v_mul_f64 v[7:8], v[87:88], v[21:22]
	v_add_f64 v[65:66], v[125:126], v[109:110]
	v_add_f64 v[12:13], v[241:242], v[249:250]
	;; [unrolled: 1-line block ×3, first 2 shown]
	v_fma_f64 v[177:178], v[45:46], v[17:18], -v[15:16]
	v_mul_f64 v[15:16], v[103:104], v[35:36]
	v_fma_f64 v[133:134], v[19:20], v[89:90], v[7:8]
	v_mul_f64 v[7:8], v[89:90], v[21:22]
	v_add_f64 v[89:90], v[181:182], -v[223:224]
	v_mul_f64 v[101:102], v[12:13], s[18:19]
	v_fma_f64 v[251:252], v[33:34], v[43:44], v[15:16]
	v_mul_f64 v[15:16], v[43:44], v[35:36]
	v_add_f64 v[35:36], v[121:122], v[59:60]
	v_add_f64 v[43:44], v[115:116], v[111:112]
	v_fma_f64 v[131:132], v[19:20], v[87:88], -v[7:8]
	v_add_f64 v[19:20], v[163:164], -v[151:152]
	v_add_f64 v[87:88], v[239:240], v[243:244]
	v_add_f64 v[6:7], v[229:230], -v[231:232]
	v_fma_f64 v[195:196], v[33:34], v[103:104], -v[15:16]
	v_mul_f64 v[15:16], v[23:24], v[55:56]
	v_mul_f64 v[4:5], v[35:36], s[6:7]
	;; [unrolled: 1-line block ×3, first 2 shown]
	v_add_f64 v[33:34], v[145:146], v[119:120]
	v_add_f64 v[103:104], v[123:124], -v[141:142]
	v_mul_f64 v[253:254], v[6:7], s[50:51]
	v_fma_f64 v[0:1], v[53:54], v[85:86], v[15:16]
	v_mul_f64 v[15:16], v[85:86], v[55:56]
	v_add_f64 v[55:56], v[125:126], -v[109:110]
	v_mul_f64 v[8:9], v[33:34], s[28:29]
	scratch_store_b64 off, v[0:1], off offset:684 ; 8-byte Folded Spill
	v_fma_f64 v[0:1], v[53:54], v[23:24], -v[15:16]
	v_mul_f64 v[15:16], v[105:106], v[51:52]
	v_add_f64 v[23:24], v[163:164], v[151:152]
	scratch_store_b64 off, v[0:1], off offset:676 ; 8-byte Folded Spill
	v_fma_f64 v[0:1], v[49:50], v[25:26], v[15:16]
	v_mul_f64 v[15:16], v[25:26], v[51:52]
	v_add_f64 v[51:52], v[121:122], -v[59:60]
	v_add_f64 v[25:26], v[155:156], -v[143:144]
	v_mul_f64 v[137:138], v[23:24], s[26:27]
	scratch_store_b64 off, v[0:1], off offset:540 ; 8-byte Folded Spill
	v_fma_f64 v[0:1], v[49:50], v[105:106], -v[15:16]
	v_mul_f64 v[15:16], v[69:70], v[185:186]
	v_mul_f64 v[161:162], v[51:52], s[46:47]
	;; [unrolled: 1-line block ×5, first 2 shown]
	scratch_store_b64 off, v[0:1], off offset:532 ; 8-byte Folded Spill
	v_fma_f64 v[0:1], v[183:184], v[211:212], v[15:16]
	v_mul_f64 v[15:16], v[211:212], v[185:186]
	scratch_store_b64 off, v[0:1], off offset:340 ; 8-byte Folded Spill
	v_fma_f64 v[0:1], v[183:184], v[69:70], -v[15:16]
	v_mul_f64 v[15:16], v[127:128], v[227:228]
	v_mul_f64 v[69:70], v[31:32], s[50:51]
	scratch_store_b64 off, v[0:1], off offset:332 ; 8-byte Folded Spill
	v_fma_f64 v[0:1], v[225:226], v[63:64], v[15:16]
	v_mul_f64 v[15:16], v[63:64], v[227:228]
	v_add_f64 v[63:64], v[129:130], -v[113:114]
	scratch_store_b64 off, v[0:1], off offset:292 ; 8-byte Folded Spill
	v_fma_f64 v[0:1], v[225:226], v[127:128], -v[15:16]
	v_mul_f64 v[15:16], v[213:214], v[189:190]
	v_mul_f64 v[127:128], v[31:32], s[36:37]
	scratch_store_b64 off, v[0:1], off offset:284 ; 8-byte Folded Spill
	v_fma_f64 v[0:1], v[187:188], v[215:216], v[15:16]
	v_mul_f64 v[15:16], v[215:216], v[189:190]
	scratch_store_b64 off, v[0:1], off offset:184 ; 8-byte Folded Spill
	v_fma_f64 v[0:1], v[187:188], v[213:214], -v[15:16]
	v_mul_f64 v[15:16], v[217:218], v[193:194]
	scratch_store_b64 off, v[0:1], off offset:136 ; 8-byte Folded Spill
	v_fma_f64 v[0:1], v[191:192], v[219:220], v[15:16]
	v_mul_f64 v[15:16], v[219:220], v[193:194]
	scratch_store_b64 off, v[0:1], off offset:128 ; 8-byte Folded Spill
	v_fma_f64 v[0:1], v[191:192], v[217:218], -v[15:16]
	v_fma_f64 v[15:16], v[55:56], s[48:49], v[4:5]
	s_clause 0x5
	scratch_store_b64 off, v[0:1], off offset:120
	scratch_store_b64 off, v[59:60], off offset:300
	;; [unrolled: 1-line block ×6, first 2 shown]
	v_add_f64 v[15:16], v[39:40], v[15:16]
	s_clause 0x3
	scratch_store_b64 off, v[111:112], off offset:316
	scratch_store_b64 off, v[115:116], off offset:428
	;; [unrolled: 1-line block ×4, first 2 shown]
	v_mul_f64 v[0:1], v[51:52], s[8:9]
	scratch_store_b64 off, v[17:18], off offset:152 ; 8-byte Folded Spill
	v_fma_f64 v[17:18], v[63:64], s[16:17], v[17:18]
	v_add_f64 v[4:5], v[117:118], -v[139:140]
	v_mul_f64 v[129:130], v[51:52], s[38:39]
	v_mul_f64 v[115:116], v[33:34], s[6:7]
	;; [unrolled: 1-line block ×8, first 2 shown]
	scratch_store_b64 off, v[0:1], off offset:160 ; 8-byte Folded Spill
	v_add_f64 v[15:16], v[17:18], v[15:16]
	v_fma_f64 v[17:18], v[65:66], s[6:7], v[0:1]
	v_mul_f64 v[0:1], v[31:32], s[44:45]
	v_mul_f64 v[2:3], v[4:5], s[42:43]
	v_mul_f64 v[227:228], v[4:5], s[48:49]
	s_delay_alu instid0(VALU_DEP_4) | instskip(NEXT) | instid1(VALU_DEP_4)
	v_add_f64 v[17:18], v[37:38], v[17:18]
	v_fma_f64 v[21:22], v[67:68], s[18:19], v[0:1]
	scratch_store_b64 off, v[0:1], off offset:168 ; 8-byte Folded Spill
	v_mul_f64 v[0:1], v[29:30], s[34:35]
	s_clause 0x4
	scratch_store_b64 off, v[119:120], off offset:348
	scratch_store_b64 off, v[145:146], off offset:500
	;; [unrolled: 1-line block ×5, first 2 shown]
	v_fma_f64 v[185:186], v[97:98], s[6:7], v[227:228]
	v_mul_f64 v[145:146], v[27:28], s[28:29]
	v_mul_f64 v[135:136], v[12:13], s[14:15]
	;; [unrolled: 1-line block ×4, first 2 shown]
	v_add_f64 v[17:18], v[21:22], v[17:18]
	v_fma_f64 v[21:22], v[71:72], s[50:51], v[8:9]
	scratch_store_b64 off, v[0:1], off offset:192 ; 8-byte Folded Spill
	v_mul_f64 v[8:9], v[27:28], s[14:15]
	s_clause 0x3
	scratch_store_b64 off, v[143:144], off offset:396
	scratch_store_b64 off, v[155:156], off offset:548
	;; [unrolled: 1-line block ×4, first 2 shown]
	v_mul_f64 v[159:160], v[31:32], s[52:53]
	v_mul_f64 v[155:156], v[25:26], s[34:35]
	;; [unrolled: 1-line block ×3, first 2 shown]
	v_add_f64 v[15:16], v[21:22], v[15:16]
	v_fma_f64 v[21:22], v[73:74], s[28:29], v[0:1]
	v_mul_f64 v[0:1], v[25:26], s[22:23]
	scratch_store_b64 off, v[8:9], off offset:200 ; 8-byte Folded Spill
	v_add_f64 v[17:18], v[21:22], v[17:18]
	scratch_store_b64 off, v[0:1], off offset:208 ; 8-byte Folded Spill
	v_fma_f64 v[21:22], v[75:76], s[56:57], v[8:9]
	v_mul_f64 v[8:9], v[23:24], s[20:21]
	s_clause 0x3
	scratch_store_b64 off, v[151:152], off offset:516
	scratch_store_b64 off, v[163:164], off offset:564
	;; [unrolled: 1-line block ×4, first 2 shown]
	v_mul_f64 v[165:166], v[35:36], s[14:15]
	v_mul_f64 v[163:164], v[43:44], s[26:27]
	;; [unrolled: 1-line block ×4, first 2 shown]
	v_add_f64 v[15:16], v[21:22], v[15:16]
	v_fma_f64 v[21:22], v[79:80], s[14:15], v[0:1]
	v_mul_f64 v[0:1], v[19:20], s[46:47]
	scratch_store_b64 off, v[8:9], off offset:216 ; 8-byte Folded Spill
	v_add_f64 v[17:18], v[21:22], v[17:18]
	scratch_store_b64 off, v[0:1], off offset:224 ; 8-byte Folded Spill
	v_fma_f64 v[21:22], v[77:78], s[36:37], v[8:9]
	v_add_f64 v[8:9], v[229:230], v[231:232]
	s_delay_alu instid0(VALU_DEP_2) | instskip(SKIP_2) | instid1(VALU_DEP_4)
	v_add_f64 v[15:16], v[21:22], v[15:16]
	v_fma_f64 v[21:22], v[81:82], s[20:21], v[0:1]
	v_mul_f64 v[0:1], v[12:13], s[30:31]
	v_mul_f64 v[147:148], v[8:9], s[6:7]
	;; [unrolled: 1-line block ×3, first 2 shown]
	s_delay_alu instid0(VALU_DEP_4) | instskip(SKIP_3) | instid1(VALU_DEP_2)
	v_add_f64 v[17:18], v[21:22], v[17:18]
	scratch_store_b64 off, v[0:1], off offset:236 ; 8-byte Folded Spill
	v_fma_f64 v[21:22], v[83:84], s[54:55], v[0:1]
	v_mul_f64 v[0:1], v[10:11], s[38:39]
	v_add_f64 v[14:15], v[21:22], v[15:16]
	scratch_store_b64 off, v[0:1], off offset:244 ; 8-byte Folded Spill
	v_fma_f64 v[21:22], v[87:88], s[30:31], v[0:1]
	v_mul_f64 v[0:1], v[8:9], s[10:11]
	s_delay_alu instid0(VALU_DEP_2) | instskip(SKIP_3) | instid1(VALU_DEP_2)
	v_add_f64 v[16:17], v[21:22], v[17:18]
	scratch_store_b64 off, v[0:1], off offset:252 ; 8-byte Folded Spill
	v_fma_f64 v[21:22], v[89:90], s[52:53], v[0:1]
	v_mul_f64 v[0:1], v[6:7], s[24:25]
	v_add_f64 v[14:15], v[21:22], v[14:15]
	s_delay_alu instid0(VALU_DEP_2)
	v_fma_f64 v[21:22], v[95:96], s[10:11], v[0:1]
	s_clause 0x5
	scratch_store_b64 off, v[0:1], off offset:260
	scratch_store_b64 off, v[117:118], off offset:716
	;; [unrolled: 1-line block ×6, first 2 shown]
	v_mul_f64 v[141:142], v[4:5], s[38:39]
	v_mul_f64 v[123:124], v[35:36], s[30:31]
	v_add_f64 v[16:17], v[21:22], v[16:17]
	v_fma_f64 v[21:22], v[97:98], s[26:27], v[2:3]
	v_add_f64 v[2:3], v[117:118], v[139:140]
	v_mul_f64 v[117:118], v[19:20], s[56:57]
	s_delay_alu instid0(VALU_DEP_3) | instskip(NEXT) | instid1(VALU_DEP_3)
	v_add_f64 v[16:17], v[21:22], v[16:17]
	v_mul_f64 v[0:1], v[2:3], s[26:27]
	v_mul_f64 v[189:190], v[2:3], s[6:7]
	;; [unrolled: 1-line block ×3, first 2 shown]
	s_delay_alu instid0(VALU_DEP_3)
	v_fma_f64 v[21:22], v[103:104], s[40:41], v[0:1]
	scratch_store_b64 off, v[0:1], off offset:276 ; 8-byte Folded Spill
	v_mul_f64 v[0:1], v[35:36], s[18:19]
	v_fma_f64 v[187:188], v[103:104], s[8:9], v[189:190]
	v_add_f64 v[14:15], v[21:22], v[14:15]
	v_mul_f64 v[21:22], v[16:17], v[237:238]
	scratch_store_b64 off, v[0:1], off offset:580 ; 8-byte Folded Spill
	v_mul_f64 v[53:54], v[14:15], v[237:238]
	v_fma_f64 v[47:48], v[14:15], v[207:208], v[21:22]
	v_fma_f64 v[14:15], v[55:56], s[16:17], v[0:1]
	v_mul_f64 v[0:1], v[43:44], s[14:15]
	s_delay_alu instid0(VALU_DEP_4) | instskip(SKIP_1) | instid1(VALU_DEP_4)
	v_fma_f64 v[45:46], v[16:17], v[207:208], -v[53:54]
	v_mul_f64 v[53:54], v[25:26], s[54:55]
	v_add_f64 v[14:15], v[39:40], v[14:15]
	scratch_store_b64 off, v[0:1], off offset:588 ; 8-byte Folded Spill
	v_fma_f64 v[16:17], v[63:64], s[56:57], v[0:1]
	v_mul_f64 v[0:1], v[51:52], s[44:45]
	s_delay_alu instid0(VALU_DEP_2) | instskip(SKIP_3) | instid1(VALU_DEP_2)
	v_add_f64 v[14:15], v[16:17], v[14:15]
	scratch_store_b64 off, v[0:1], off offset:596 ; 8-byte Folded Spill
	v_fma_f64 v[16:17], v[65:66], s[18:19], v[0:1]
	v_mul_f64 v[0:1], v[31:32], s[22:23]
	v_add_f64 v[16:17], v[37:38], v[16:17]
	scratch_store_b64 off, v[0:1], off offset:604 ; 8-byte Folded Spill
	v_fma_f64 v[21:22], v[67:68], s[14:15], v[0:1]
	v_mul_f64 v[0:1], v[33:34], s[30:31]
	s_delay_alu instid0(VALU_DEP_2) | instskip(SKIP_3) | instid1(VALU_DEP_2)
	v_add_f64 v[16:17], v[21:22], v[16:17]
	scratch_store_b64 off, v[0:1], off offset:612 ; 8-byte Folded Spill
	v_fma_f64 v[21:22], v[71:72], s[54:55], v[0:1]
	;; [unrolled: 9-line block ×5, first 2 shown]
	v_mul_f64 v[0:1], v[10:11], s[36:37]
	v_add_f64 v[14:15], v[21:22], v[14:15]
	scratch_store_b64 off, v[0:1], off offset:668 ; 8-byte Folded Spill
	v_fma_f64 v[21:22], v[87:88], s[20:21], v[0:1]
	v_mul_f64 v[0:1], v[8:9], s[28:29]
	s_delay_alu instid0(VALU_DEP_2) | instskip(NEXT) | instid1(VALU_DEP_2)
	v_add_f64 v[16:17], v[21:22], v[16:17]
	v_fma_f64 v[21:22], v[89:90], s[34:35], v[0:1]
	scratch_store_b64 off, v[0:1], off offset:700 ; 8-byte Folded Spill
	v_mul_f64 v[0:1], v[35:36], s[28:29]
	v_add_f64 v[183:184], v[21:22], v[14:15]
	v_fma_f64 v[14:15], v[95:96], s[28:29], v[253:254]
	scratch_store_b64 off, v[0:1], off offset:372 ; 8-byte Folded Spill
	v_mul_f64 v[21:22], v[8:9], s[18:19]
	v_add_f64 v[183:184], v[187:188], v[183:184]
	v_add_f64 v[14:15], v[14:15], v[16:17]
	s_delay_alu instid0(VALU_DEP_2) | instskip(NEXT) | instid1(VALU_DEP_2)
	v_mul_f64 v[207:208], v[183:184], v[221:222]
	v_add_f64 v[185:186], v[185:186], v[14:15]
	s_delay_alu instid0(VALU_DEP_1) | instskip(NEXT) | instid1(VALU_DEP_3)
	v_mul_f64 v[187:188], v[185:186], v[221:222]
	v_fma_f64 v[14:15], v[185:186], v[209:210], -v[207:208]
	s_delay_alu instid0(VALU_DEP_2)
	v_fma_f64 v[16:17], v[183:184], v[209:210], v[187:188]
	v_fma_f64 v[183:184], v[55:56], s[50:51], v[0:1]
	v_mul_f64 v[0:1], v[43:44], s[30:31]
	scratch_store_b128 off, v[45:48], off offset:8 ; 16-byte Folded Spill
	v_mul_f64 v[47:48], v[19:20], s[8:9]
	v_mul_f64 v[45:46], v[12:13], s[26:27]
	scratch_store_b128 off, v[14:17], off offset:24 ; 16-byte Folded Spill
	v_add_f64 v[183:184], v[39:40], v[183:184]
	scratch_store_b64 off, v[0:1], off offset:364 ; 8-byte Folded Spill
	v_fma_f64 v[185:186], v[63:64], s[54:55], v[0:1]
	v_mul_f64 v[0:1], v[51:52], s[34:35]
	s_delay_alu instid0(VALU_DEP_2) | instskip(SKIP_3) | instid1(VALU_DEP_2)
	v_add_f64 v[183:184], v[185:186], v[183:184]
	scratch_store_b64 off, v[0:1], off offset:412 ; 8-byte Folded Spill
	v_fma_f64 v[185:186], v[65:66], s[28:29], v[0:1]
	v_mul_f64 v[0:1], v[31:32], s[38:39]
	v_add_f64 v[185:186], v[37:38], v[185:186]
	scratch_store_b64 off, v[0:1], off offset:388 ; 8-byte Folded Spill
	v_fma_f64 v[187:188], v[67:68], s[30:31], v[0:1]
	v_mul_f64 v[0:1], v[33:34], s[26:27]
	s_delay_alu instid0(VALU_DEP_2) | instskip(SKIP_3) | instid1(VALU_DEP_2)
	v_add_f64 v[185:186], v[187:188], v[185:186]
	scratch_store_b64 off, v[0:1], off offset:404 ; 8-byte Folded Spill
	v_fma_f64 v[187:188], v[71:72], s[42:43], v[0:1]
	v_mul_f64 v[0:1], v[29:30], s[40:41]
	;; [unrolled: 9-line block ×4, first 2 shown]
	v_add_f64 v[183:184], v[225:226], v[183:184]
	scratch_store_b64 off, v[0:1], off offset:492 ; 8-byte Folded Spill
	v_fma_f64 v[225:226], v[81:82], s[18:19], v[0:1]
	v_mul_f64 v[0:1], v[12:13], s[6:7]
	s_delay_alu instid0(VALU_DEP_2) | instskip(NEXT) | instid1(VALU_DEP_2)
	v_add_f64 v[233:234], v[225:226], v[185:186]
	v_fma_f64 v[185:186], v[83:84], s[48:49], v[0:1]
	scratch_store_b64 off, v[0:1], off offset:484 ; 8-byte Folded Spill
	v_add_f64 v[235:236], v[185:186], v[183:184]
	v_mul_f64 v[185:186], v[10:11], s[8:9]
	s_delay_alu instid0(VALU_DEP_1) | instskip(NEXT) | instid1(VALU_DEP_1)
	v_fma_f64 v[183:184], v[87:88], s[6:7], v[185:186]
	v_add_f64 v[233:234], v[183:184], v[233:234]
	v_mul_f64 v[183:184], v[8:9], s[14:15]
	s_delay_alu instid0(VALU_DEP_1) | instskip(NEXT) | instid1(VALU_DEP_1)
	v_fma_f64 v[237:238], v[89:90], s[56:57], v[183:184]
	;; [unrolled: 4-line block ×5, first 2 shown]
	v_add_f64 v[0:1], v[193:194], v[0:1]
	s_delay_alu instid0(VALU_DEP_4) | instskip(NEXT) | instid1(VALU_DEP_2)
	v_mul_f64 v[193:194], v[191:192], v[41:42]
	v_mul_f64 v[41:42], v[0:1], v[41:42]
	s_delay_alu instid0(VALU_DEP_2) | instskip(SKIP_1) | instid1(VALU_DEP_3)
	v_fma_f64 v[16:17], v[0:1], v[61:62], v[193:194]
	v_mul_f64 v[0:1], v[2:3], s[20:21]
	v_fma_f64 v[14:15], v[191:192], v[61:62], -v[41:42]
	v_fma_f64 v[41:42], v[55:56], s[56:57], v[165:166]
	v_fma_f64 v[191:192], v[63:64], s[40:41], v[163:164]
	v_mul_f64 v[61:62], v[33:34], s[14:15]
	scratch_store_b128 off, v[14:17], off offset:40 ; 16-byte Folded Spill
	v_add_f64 v[41:42], v[39:40], v[41:42]
	s_delay_alu instid0(VALU_DEP_1) | instskip(SKIP_2) | instid1(VALU_DEP_2)
	v_add_f64 v[41:42], v[191:192], v[41:42]
	v_mul_f64 v[191:192], v[51:52], s[22:23]
	v_mul_f64 v[51:52], v[51:52], s[42:43]
	v_fma_f64 v[193:194], v[65:66], s[14:15], v[191:192]
	s_delay_alu instid0(VALU_DEP_1) | instskip(NEXT) | instid1(VALU_DEP_1)
	v_add_f64 v[193:194], v[37:38], v[193:194]
	v_add_f64 v[193:194], v[197:198], v[193:194]
	v_mul_f64 v[197:198], v[33:34], s[20:21]
	v_mul_f64 v[33:34], v[33:34], s[10:11]
	s_delay_alu instid0(VALU_DEP_2) | instskip(NEXT) | instid1(VALU_DEP_1)
	v_fma_f64 v[199:200], v[71:72], s[46:47], v[197:198]
	v_add_f64 v[41:42], v[199:200], v[41:42]
	v_mul_f64 v[199:200], v[29:30], s[36:37]
	s_delay_alu instid0(VALU_DEP_1) | instskip(NEXT) | instid1(VALU_DEP_1)
	v_fma_f64 v[201:202], v[73:74], s[20:21], v[199:200]
	v_add_f64 v[193:194], v[201:202], v[193:194]
	v_mul_f64 v[201:202], v[27:28], s[6:7]
	s_delay_alu instid0(VALU_DEP_1) | instskip(NEXT) | instid1(VALU_DEP_1)
	v_fma_f64 v[203:204], v[75:76], s[8:9], v[201:202]
	v_add_f64 v[41:42], v[203:204], v[41:42]
	v_mul_f64 v[203:204], v[25:26], s[48:49]
	v_mul_f64 v[25:26], v[25:26], s[16:17]
	s_delay_alu instid0(VALU_DEP_2) | instskip(NEXT) | instid1(VALU_DEP_1)
	v_fma_f64 v[205:206], v[79:80], s[6:7], v[203:204]
	v_add_f64 v[193:194], v[205:206], v[193:194]
	v_mul_f64 v[205:206], v[23:24], s[28:29]
	v_mul_f64 v[23:24], v[23:24], s[30:31]
	s_delay_alu instid0(VALU_DEP_2) | instskip(NEXT) | instid1(VALU_DEP_1)
	;; [unrolled: 5-line block ×4, first 2 shown]
	v_fma_f64 v[211:212], v[83:84], s[52:53], v[209:210]
	v_add_f64 v[41:42], v[211:212], v[41:42]
	v_mul_f64 v[211:212], v[10:11], s[24:25]
	s_delay_alu instid0(VALU_DEP_1) | instskip(NEXT) | instid1(VALU_DEP_1)
	v_fma_f64 v[213:214], v[87:88], s[10:11], v[211:212]
	v_add_f64 v[193:194], v[213:214], v[193:194]
	v_mul_f64 v[213:214], v[8:9], s[30:31]
	v_mul_f64 v[8:9], v[8:9], s[20:21]
	s_delay_alu instid0(VALU_DEP_2) | instskip(NEXT) | instid1(VALU_DEP_1)
	v_fma_f64 v[215:216], v[89:90], s[38:39], v[213:214]
	v_add_f64 v[41:42], v[215:216], v[41:42]
	v_mul_f64 v[215:216], v[6:7], s[54:55]
	s_delay_alu instid0(VALU_DEP_1) | instskip(NEXT) | instid1(VALU_DEP_1)
	v_fma_f64 v[217:218], v[95:96], s[30:31], v[215:216]
	v_add_f64 v[193:194], v[217:218], v[193:194]
	v_mul_f64 v[217:218], v[4:5], s[16:17]
	s_delay_alu instid0(VALU_DEP_1) | instskip(NEXT) | instid1(VALU_DEP_1)
	;; [unrolled: 4-line block ×3, first 2 shown]
	v_fma_f64 v[221:222], v[103:104], s[44:45], v[219:220]
	v_add_f64 v[41:42], v[221:222], v[41:42]
	s_delay_alu instid0(VALU_DEP_4) | instskip(NEXT) | instid1(VALU_DEP_2)
	v_mul_f64 v[221:222], v[193:194], v[93:94]
	v_mul_f64 v[93:94], v[41:42], v[93:94]
	s_delay_alu instid0(VALU_DEP_2) | instskip(SKIP_1) | instid1(VALU_DEP_3)
	v_fma_f64 v[16:17], v[41:42], v[91:92], v[221:222]
	v_mul_f64 v[221:222], v[43:44], s[10:11]
	v_fma_f64 v[14:15], v[193:194], v[91:92], -v[93:94]
	v_mul_f64 v[193:194], v[35:36], s[20:21]
	s_delay_alu instid0(VALU_DEP_3) | instskip(SKIP_3) | instid1(VALU_DEP_1)
	v_fma_f64 v[91:92], v[63:64], s[24:25], v[221:222]
	v_fma_f64 v[93:94], v[67:68], s[10:11], v[159:160]
	scratch_store_b128 off, v[14:17], off offset:56 ; 16-byte Folded Spill
	v_fma_f64 v[41:42], v[55:56], s[36:37], v[193:194]
	v_add_f64 v[41:42], v[39:40], v[41:42]
	s_delay_alu instid0(VALU_DEP_1) | instskip(SKIP_1) | instid1(VALU_DEP_1)
	v_add_f64 v[41:42], v[91:92], v[41:42]
	v_fma_f64 v[91:92], v[65:66], s[20:21], v[161:162]
	v_add_f64 v[91:92], v[37:38], v[91:92]
	s_delay_alu instid0(VALU_DEP_1) | instskip(SKIP_1) | instid1(VALU_DEP_1)
	v_add_f64 v[91:92], v[93:94], v[91:92]
	v_fma_f64 v[93:94], v[71:72], s[44:45], v[151:152]
	v_add_f64 v[41:42], v[93:94], v[41:42]
	v_fma_f64 v[93:94], v[73:74], s[18:19], v[157:158]
	s_delay_alu instid0(VALU_DEP_1) | instskip(SKIP_1) | instid1(VALU_DEP_1)
	v_add_f64 v[91:92], v[93:94], v[91:92]
	v_fma_f64 v[93:94], v[75:76], s[50:51], v[145:146]
	v_add_f64 v[41:42], v[93:94], v[41:42]
	v_fma_f64 v[93:94], v[79:80], s[28:29], v[155:156]
	;; [unrolled: 5-line block ×6, first 2 shown]
	s_delay_alu instid0(VALU_DEP_1) | instskip(NEXT) | instid1(VALU_DEP_3)
	v_add_f64 v[41:42], v[93:94], v[41:42]
	v_mul_f64 v[93:94], v[91:92], v[107:108]
	s_delay_alu instid0(VALU_DEP_2) | instskip(NEXT) | instid1(VALU_DEP_2)
	v_mul_f64 v[107:108], v[41:42], v[107:108]
	v_fma_f64 v[16:17], v[41:42], v[57:58], v[93:94]
	v_fma_f64 v[41:42], v[55:56], s[54:55], v[123:124]
	;; [unrolled: 1-line block ×3, first 2 shown]
	s_delay_alu instid0(VALU_DEP_4) | instskip(SKIP_1) | instid1(VALU_DEP_4)
	v_fma_f64 v[14:15], v[91:92], v[57:58], -v[107:108]
	v_fma_f64 v[91:92], v[63:64], s[46:47], v[119:120]
	v_add_f64 v[41:42], v[39:40], v[41:42]
	v_mul_f64 v[107:108], v[4:5], s[50:51]
	v_mul_f64 v[57:58], v[27:28], s[30:31]
	;; [unrolled: 1-line block ×3, first 2 shown]
	scratch_store_b128 off, v[14:17], off offset:72 ; 16-byte Folded Spill
	v_add_f64 v[41:42], v[91:92], v[41:42]
	v_fma_f64 v[91:92], v[65:66], s[30:31], v[129:130]
	v_fma_f64 v[187:188], v[97:98], s[28:29], v[107:108]
	s_delay_alu instid0(VALU_DEP_2) | instskip(NEXT) | instid1(VALU_DEP_1)
	v_add_f64 v[91:92], v[37:38], v[91:92]
	v_add_f64 v[91:92], v[93:94], v[91:92]
	v_fma_f64 v[93:94], v[71:72], s[48:49], v[115:116]
	s_delay_alu instid0(VALU_DEP_1) | instskip(SKIP_1) | instid1(VALU_DEP_1)
	v_add_f64 v[41:42], v[93:94], v[41:42]
	v_fma_f64 v[93:94], v[73:74], s[6:7], v[125:126]
	v_add_f64 v[91:92], v[93:94], v[91:92]
	v_fma_f64 v[93:94], v[75:76], s[52:53], v[111:112]
	s_delay_alu instid0(VALU_DEP_1) | instskip(SKIP_1) | instid1(VALU_DEP_1)
	v_add_f64 v[41:42], v[93:94], v[41:42]
	v_fma_f64 v[93:94], v[79:80], s[10:11], v[121:122]
	;; [unrolled: 5-line block ×5, first 2 shown]
	v_add_f64 v[91:92], v[93:94], v[91:92]
	v_mul_f64 v[93:94], v[35:36], s[10:11]
	v_mul_f64 v[35:36], v[35:36], s[26:27]
	s_delay_alu instid0(VALU_DEP_3) | instskip(SKIP_2) | instid1(VALU_DEP_2)
	v_add_f64 v[91:92], v[187:188], v[91:92]
	v_mul_f64 v[187:188], v[2:3], s[28:29]
	v_mul_f64 v[2:3], v[2:3], s[14:15]
	v_fma_f64 v[225:226], v[103:104], s[34:35], v[187:188]
	s_delay_alu instid0(VALU_DEP_1) | instskip(SKIP_1) | instid1(VALU_DEP_2)
	v_add_f64 v[41:42], v[225:226], v[41:42]
	v_mul_f64 v[225:226], v[91:92], v[133:134]
	v_mul_f64 v[133:134], v[41:42], v[133:134]
	s_delay_alu instid0(VALU_DEP_2)
	v_fma_f64 v[16:17], v[41:42], v[131:132], v[225:226]
	v_mul_f64 v[225:226], v[43:44], s[28:29]
	v_mul_f64 v[41:42], v[10:11], s[42:43]
	;; [unrolled: 1-line block ×4, first 2 shown]
	v_fma_f64 v[14:15], v[91:92], v[131:132], -v[133:134]
	v_fma_f64 v[91:92], v[55:56], s[52:53], v[93:94]
	v_fma_f64 v[131:132], v[63:64], s[34:35], v[225:226]
	;; [unrolled: 1-line block ×3, first 2 shown]
	scratch_store_b128 off, v[14:17], off offset:88 ; 16-byte Folded Spill
	v_add_f64 v[91:92], v[39:40], v[91:92]
	v_mul_f64 v[16:17], v[6:7], s[16:17]
	v_mul_f64 v[14:15], v[4:5], s[46:47]
	;; [unrolled: 1-line block ×4, first 2 shown]
	v_add_f64 v[91:92], v[131:132], v[91:92]
	v_fma_f64 v[131:132], v[65:66], s[10:11], v[85:86]
	s_delay_alu instid0(VALU_DEP_1) | instskip(NEXT) | instid1(VALU_DEP_1)
	v_add_f64 v[131:132], v[37:38], v[131:132]
	v_add_f64 v[131:132], v[133:134], v[131:132]
	v_fma_f64 v[133:134], v[71:72], s[56:57], v[61:62]
	s_delay_alu instid0(VALU_DEP_1) | instskip(SKIP_1) | instid1(VALU_DEP_1)
	v_add_f64 v[91:92], v[133:134], v[91:92]
	v_fma_f64 v[133:134], v[73:74], s[14:15], v[59:60]
	v_add_f64 v[131:132], v[133:134], v[131:132]
	v_fma_f64 v[133:134], v[75:76], s[38:39], v[57:58]
	s_delay_alu instid0(VALU_DEP_1) | instskip(SKIP_1) | instid1(VALU_DEP_1)
	v_add_f64 v[91:92], v[133:134], v[91:92]
	v_fma_f64 v[133:134], v[79:80], s[30:31], v[53:54]
	;; [unrolled: 5-line block ×5, first 2 shown]
	v_add_f64 v[131:132], v[133:134], v[131:132]
	v_fma_f64 v[133:134], v[97:98], s[20:21], v[14:15]
	s_delay_alu instid0(VALU_DEP_1) | instskip(SKIP_2) | instid1(VALU_DEP_2)
	v_add_f64 v[131:132], v[133:134], v[131:132]
	v_fma_f64 v[133:134], v[103:104], s[36:37], v[0:1]
	v_fma_f64 v[0:1], v[103:104], s[46:47], v[0:1]
	v_add_f64 v[91:92], v[133:134], v[91:92]
	s_delay_alu instid0(VALU_DEP_4) | instskip(NEXT) | instid1(VALU_DEP_2)
	v_mul_f64 v[133:134], v[131:132], v[171:172]
	v_mul_f64 v[171:172], v[91:92], v[171:172]
	s_delay_alu instid0(VALU_DEP_2) | instskip(SKIP_2) | instid1(VALU_DEP_4)
	v_fma_f64 v[133:134], v[91:92], v[169:170], v[133:134]
	v_fma_f64 v[91:92], v[55:56], s[40:41], v[35:36]
	;; [unrolled: 1-line block ×3, first 2 shown]
	v_fma_f64 v[131:132], v[131:132], v[169:170], -v[171:172]
	v_fma_f64 v[169:170], v[63:64], s[8:9], v[43:44]
	s_delay_alu instid0(VALU_DEP_4) | instskip(NEXT) | instid1(VALU_DEP_4)
	v_add_f64 v[91:92], v[39:40], v[91:92]
	v_add_f64 v[35:36], v[39:40], v[35:36]
	v_fma_f64 v[43:44], v[63:64], s[48:49], v[43:44]
	s_delay_alu instid0(VALU_DEP_3) | instskip(SKIP_2) | instid1(VALU_DEP_4)
	v_add_f64 v[91:92], v[169:170], v[91:92]
	v_mul_f64 v[169:170], v[31:32], s[48:49]
	v_fma_f64 v[31:32], v[65:66], s[26:27], v[51:52]
	v_add_f64 v[35:36], v[43:44], v[35:36]
	v_fma_f64 v[43:44], v[65:66], s[26:27], -v[51:52]
	s_delay_alu instid0(VALU_DEP_4) | instskip(NEXT) | instid1(VALU_DEP_4)
	v_fma_f64 v[171:172], v[67:68], s[6:7], v[169:170]
	v_add_f64 v[31:32], v[37:38], v[31:32]
	v_fma_f64 v[51:52], v[67:68], s[6:7], -v[169:170]
	s_delay_alu instid0(VALU_DEP_4) | instskip(NEXT) | instid1(VALU_DEP_3)
	v_add_f64 v[43:44], v[37:38], v[43:44]
	v_add_f64 v[31:32], v[171:172], v[31:32]
	v_fma_f64 v[171:172], v[71:72], s[52:53], v[33:34]
	v_fma_f64 v[33:34], v[71:72], s[24:25], v[33:34]
	s_delay_alu instid0(VALU_DEP_4) | instskip(NEXT) | instid1(VALU_DEP_3)
	v_add_f64 v[43:44], v[51:52], v[43:44]
	v_add_f64 v[91:92], v[171:172], v[91:92]
	v_mul_f64 v[171:172], v[29:30], s[24:25]
	s_delay_alu instid0(VALU_DEP_4) | instskip(NEXT) | instid1(VALU_DEP_2)
	v_add_f64 v[33:34], v[33:34], v[35:36]
	v_fma_f64 v[29:30], v[73:74], s[10:11], v[171:172]
	v_fma_f64 v[35:36], v[73:74], s[10:11], -v[171:172]
	s_delay_alu instid0(VALU_DEP_2) | instskip(SKIP_1) | instid1(VALU_DEP_3)
	v_add_f64 v[29:30], v[29:30], v[31:32]
	v_fma_f64 v[31:32], v[75:76], s[44:45], v[27:28]
	v_add_f64 v[35:36], v[35:36], v[43:44]
	v_fma_f64 v[27:28], v[75:76], s[16:17], v[27:28]
	s_delay_alu instid0(VALU_DEP_3) | instskip(SKIP_2) | instid1(VALU_DEP_4)
	v_add_f64 v[31:32], v[31:32], v[91:92]
	v_fma_f64 v[91:92], v[79:80], s[18:19], v[25:26]
	v_fma_f64 v[25:26], v[79:80], s[18:19], -v[25:26]
	v_add_f64 v[27:28], v[27:28], v[33:34]
	s_delay_alu instid0(VALU_DEP_3) | instskip(SKIP_1) | instid1(VALU_DEP_4)
	v_add_f64 v[29:30], v[91:92], v[29:30]
	v_fma_f64 v[91:92], v[77:78], s[54:55], v[23:24]
	v_add_f64 v[25:26], v[25:26], v[35:36]
	v_fma_f64 v[23:24], v[77:78], s[38:39], v[23:24]
	s_delay_alu instid0(VALU_DEP_3) | instskip(SKIP_2) | instid1(VALU_DEP_4)
	v_add_f64 v[31:32], v[91:92], v[31:32]
	v_fma_f64 v[91:92], v[81:82], s[30:31], v[18:19]
	v_fma_f64 v[18:19], v[81:82], s[30:31], -v[18:19]
	v_add_f64 v[23:24], v[23:24], v[27:28]
	scratch_load_b64 v[27:28], off, off offset:388 ; 8-byte Folded Reload
	v_add_f64 v[29:30], v[91:92], v[29:30]
	v_fma_f64 v[91:92], v[83:84], s[34:35], v[12:13]
	v_add_f64 v[18:19], v[18:19], v[25:26]
	v_fma_f64 v[12:13], v[83:84], s[50:51], v[12:13]
	s_delay_alu instid0(VALU_DEP_3) | instskip(SKIP_2) | instid1(VALU_DEP_4)
	v_add_f64 v[31:32], v[91:92], v[31:32]
	v_fma_f64 v[91:92], v[87:88], s[28:29], v[10:11]
	v_fma_f64 v[10:11], v[87:88], s[28:29], -v[10:11]
	v_add_f64 v[12:13], v[12:13], v[23:24]
	s_delay_alu instid0(VALU_DEP_3) | instskip(SKIP_1) | instid1(VALU_DEP_4)
	v_add_f64 v[29:30], v[91:92], v[29:30]
	v_fma_f64 v[91:92], v[89:90], s[36:37], v[8:9]
	v_add_f64 v[10:11], v[10:11], v[18:19]
	v_fma_f64 v[8:9], v[89:90], s[46:47], v[8:9]
	scratch_load_b64 v[18:19], off, off offset:128 ; 8-byte Folded Reload
	v_add_f64 v[31:32], v[91:92], v[31:32]
	v_fma_f64 v[91:92], v[95:96], s[20:21], v[6:7]
	v_fma_f64 v[6:7], v[95:96], s[20:21], -v[6:7]
	v_add_f64 v[8:9], v[8:9], v[12:13]
	s_delay_alu instid0(VALU_DEP_3) | instskip(SKIP_1) | instid1(VALU_DEP_4)
	v_add_f64 v[29:30], v[91:92], v[29:30]
	v_fma_f64 v[91:92], v[97:98], s[14:15], v[4:5]
	v_add_f64 v[6:7], v[6:7], v[10:11]
	v_fma_f64 v[4:5], v[97:98], s[14:15], -v[4:5]
	scratch_load_b64 v[10:11], off, off offset:284 ; 8-byte Folded Reload
	v_add_f64 v[29:30], v[91:92], v[29:30]
	v_fma_f64 v[91:92], v[103:104], s[22:23], v[2:3]
	v_add_f64 v[4:5], v[4:5], v[6:7]
	v_fma_f64 v[2:3], v[103:104], s[56:57], v[2:3]
	s_delay_alu instid0(VALU_DEP_3) | instskip(NEXT) | instid1(VALU_DEP_3)
	v_add_f64 v[31:32], v[91:92], v[31:32]
	v_mul_f64 v[6:7], v[4:5], v[179:180]
	s_delay_alu instid0(VALU_DEP_3) | instskip(SKIP_1) | instid1(VALU_DEP_4)
	v_add_f64 v[2:3], v[2:3], v[8:9]
	v_mul_f64 v[91:92], v[29:30], v[175:176]
	v_mul_f64 v[175:176], v[31:32], v[175:176]
	s_delay_alu instid0(VALU_DEP_3)
	v_mul_f64 v[8:9], v[2:3], v[179:180]
	v_fma_f64 v[35:36], v[2:3], v[177:178], v[6:7]
	v_fma_f64 v[2:3], v[55:56], s[24:25], v[93:94]
	v_fma_f64 v[6:7], v[67:68], s[28:29], -v[69:70]
	v_fma_f64 v[31:32], v[31:32], v[173:174], v[91:92]
	s_waitcnt vmcnt(2)
	v_fma_f64 v[27:28], v[67:68], s[30:31], -v[27:28]
	v_fma_f64 v[29:30], v[29:30], v[173:174], -v[175:176]
	;; [unrolled: 1-line block ×3, first 2 shown]
	v_fma_f64 v[4:5], v[63:64], s[50:51], v[225:226]
	v_add_f64 v[2:3], v[39:40], v[2:3]
	scratch_load_b64 v[8:9], off, off offset:676 ; 8-byte Folded Reload
	v_add_f64 v[2:3], v[4:5], v[2:3]
	v_fma_f64 v[4:5], v[65:66], s[10:11], -v[85:86]
	s_delay_alu instid0(VALU_DEP_1) | instskip(NEXT) | instid1(VALU_DEP_1)
	v_add_f64 v[4:5], v[37:38], v[4:5]
	v_add_f64 v[4:5], v[6:7], v[4:5]
	v_fma_f64 v[6:7], v[71:72], s[22:23], v[61:62]
	s_delay_alu instid0(VALU_DEP_1) | instskip(SKIP_1) | instid1(VALU_DEP_1)
	v_add_f64 v[2:3], v[6:7], v[2:3]
	v_fma_f64 v[6:7], v[73:74], s[14:15], -v[59:60]
	v_add_f64 v[4:5], v[6:7], v[4:5]
	v_fma_f64 v[6:7], v[75:76], s[54:55], v[57:58]
	s_delay_alu instid0(VALU_DEP_1) | instskip(SKIP_1) | instid1(VALU_DEP_1)
	v_add_f64 v[2:3], v[6:7], v[2:3]
	v_fma_f64 v[6:7], v[79:80], s[30:31], -v[53:54]
	;; [unrolled: 5-line block ×4, first 2 shown]
	v_add_f64 v[4:5], v[6:7], v[4:5]
	v_fma_f64 v[6:7], v[89:90], s[16:17], v[21:22]
	scratch_load_b64 v[20:21], off, off offset:120 ; 8-byte Folded Reload
	v_add_f64 v[2:3], v[6:7], v[2:3]
	v_fma_f64 v[6:7], v[95:96], s[18:19], -v[16:17]
	s_delay_alu instid0(VALU_DEP_2) | instskip(NEXT) | instid1(VALU_DEP_2)
	v_add_f64 v[0:1], v[0:1], v[2:3]
	v_add_f64 v[4:5], v[6:7], v[4:5]
	v_fma_f64 v[6:7], v[97:98], s[20:21], -v[14:15]
	s_delay_alu instid0(VALU_DEP_1) | instskip(NEXT) | instid1(VALU_DEP_4)
	v_add_f64 v[4:5], v[6:7], v[4:5]
	v_mul_f64 v[6:7], v[0:1], v[251:252]
	s_delay_alu instid0(VALU_DEP_2) | instskip(NEXT) | instid1(VALU_DEP_2)
	v_mul_f64 v[2:3], v[4:5], v[251:252]
	v_fma_f64 v[41:42], v[4:5], v[195:196], -v[6:7]
	scratch_load_b64 v[6:7], off, off offset:684 ; 8-byte Folded Reload
	v_fma_f64 v[4:5], v[67:68], s[20:21], -v[127:128]
	v_fma_f64 v[43:44], v[0:1], v[195:196], v[2:3]
	v_fma_f64 v[0:1], v[55:56], s[38:39], v[123:124]
	;; [unrolled: 1-line block ×3, first 2 shown]
	s_delay_alu instid0(VALU_DEP_2) | instskip(NEXT) | instid1(VALU_DEP_1)
	v_add_f64 v[0:1], v[39:40], v[0:1]
	v_add_f64 v[0:1], v[2:3], v[0:1]
	v_fma_f64 v[2:3], v[71:72], s[8:9], v[115:116]
	s_delay_alu instid0(VALU_DEP_1) | instskip(SKIP_1) | instid1(VALU_DEP_1)
	v_add_f64 v[0:1], v[2:3], v[0:1]
	v_fma_f64 v[2:3], v[75:76], s[24:25], v[111:112]
	v_add_f64 v[0:1], v[2:3], v[0:1]
	v_fma_f64 v[2:3], v[77:78], s[56:57], v[105:106]
	s_delay_alu instid0(VALU_DEP_1) | instskip(SKIP_1) | instid1(VALU_DEP_1)
	v_add_f64 v[0:1], v[2:3], v[0:1]
	v_fma_f64 v[2:3], v[83:84], s[44:45], v[101:102]
	v_add_f64 v[0:1], v[2:3], v[0:1]
	v_fma_f64 v[2:3], v[89:90], s[42:43], v[99:100]
	s_delay_alu instid0(VALU_DEP_1) | instskip(SKIP_1) | instid1(VALU_DEP_1)
	v_add_f64 v[0:1], v[2:3], v[0:1]
	v_fma_f64 v[2:3], v[65:66], s[30:31], -v[129:130]
	v_add_f64 v[2:3], v[37:38], v[2:3]
	s_delay_alu instid0(VALU_DEP_1) | instskip(SKIP_1) | instid1(VALU_DEP_1)
	v_add_f64 v[2:3], v[4:5], v[2:3]
	v_fma_f64 v[4:5], v[73:74], s[6:7], -v[125:126]
	v_add_f64 v[2:3], v[4:5], v[2:3]
	v_fma_f64 v[4:5], v[79:80], s[10:11], -v[121:122]
	s_delay_alu instid0(VALU_DEP_1) | instskip(SKIP_1) | instid1(VALU_DEP_1)
	v_add_f64 v[2:3], v[4:5], v[2:3]
	v_fma_f64 v[4:5], v[81:82], s[14:15], -v[117:118]
	v_add_f64 v[2:3], v[4:5], v[2:3]
	v_fma_f64 v[4:5], v[87:88], s[18:19], -v[113:114]
	;; [unrolled: 5-line block ×3, first 2 shown]
	s_delay_alu instid0(VALU_DEP_1) | instskip(SKIP_1) | instid1(VALU_DEP_1)
	v_add_f64 v[2:3], v[4:5], v[2:3]
	v_fma_f64 v[4:5], v[103:104], s[50:51], v[187:188]
	v_add_f64 v[0:1], v[4:5], v[0:1]
	s_waitcnt vmcnt(0)
	s_delay_alu instid0(VALU_DEP_3) | instskip(NEXT) | instid1(VALU_DEP_2)
	v_mul_f64 v[4:5], v[2:3], v[6:7]
	v_mul_f64 v[6:7], v[0:1], v[6:7]
	s_delay_alu instid0(VALU_DEP_2) | instskip(SKIP_2) | instid1(VALU_DEP_4)
	v_fma_f64 v[25:26], v[0:1], v[8:9], v[4:5]
	v_fma_f64 v[0:1], v[55:56], s[46:47], v[193:194]
	v_fma_f64 v[4:5], v[67:68], s[10:11], -v[159:160]
	v_fma_f64 v[23:24], v[2:3], v[8:9], -v[6:7]
	v_fma_f64 v[2:3], v[63:64], s[52:53], v[221:222]
	s_delay_alu instid0(VALU_DEP_4)
	v_add_f64 v[0:1], v[39:40], v[0:1]
	s_clause 0x1
	scratch_load_b64 v[6:7], off, off offset:540
	scratch_load_b64 v[8:9], off, off offset:532
	v_add_f64 v[0:1], v[2:3], v[0:1]
	v_fma_f64 v[2:3], v[71:72], s[16:17], v[151:152]
	s_delay_alu instid0(VALU_DEP_1) | instskip(SKIP_1) | instid1(VALU_DEP_1)
	v_add_f64 v[0:1], v[2:3], v[0:1]
	v_fma_f64 v[2:3], v[75:76], s[34:35], v[145:146]
	v_add_f64 v[0:1], v[2:3], v[0:1]
	v_fma_f64 v[2:3], v[77:78], s[42:43], v[137:138]
	s_delay_alu instid0(VALU_DEP_1) | instskip(SKIP_1) | instid1(VALU_DEP_1)
	v_add_f64 v[0:1], v[2:3], v[0:1]
	v_fma_f64 v[2:3], v[83:84], s[56:57], v[135:136]
	v_add_f64 v[0:1], v[2:3], v[0:1]
	v_fma_f64 v[2:3], v[65:66], s[20:21], -v[161:162]
	s_delay_alu instid0(VALU_DEP_1) | instskip(NEXT) | instid1(VALU_DEP_1)
	v_add_f64 v[2:3], v[37:38], v[2:3]
	v_add_f64 v[2:3], v[4:5], v[2:3]
	v_fma_f64 v[4:5], v[73:74], s[18:19], -v[157:158]
	s_delay_alu instid0(VALU_DEP_1) | instskip(SKIP_1) | instid1(VALU_DEP_1)
	v_add_f64 v[2:3], v[4:5], v[2:3]
	v_fma_f64 v[4:5], v[79:80], s[28:29], -v[155:156]
	v_add_f64 v[2:3], v[4:5], v[2:3]
	v_fma_f64 v[4:5], v[81:82], s[26:27], -v[153:154]
	s_delay_alu instid0(VALU_DEP_1) | instskip(SKIP_1) | instid1(VALU_DEP_1)
	v_add_f64 v[2:3], v[4:5], v[2:3]
	v_fma_f64 v[4:5], v[87:88], s[14:15], -v[149:150]
	v_add_f64 v[2:3], v[4:5], v[2:3]
	v_fma_f64 v[4:5], v[89:90], s[8:9], v[147:148]
	s_delay_alu instid0(VALU_DEP_1) | instskip(SKIP_1) | instid1(VALU_DEP_1)
	v_add_f64 v[0:1], v[4:5], v[0:1]
	v_fma_f64 v[4:5], v[95:96], s[6:7], -v[143:144]
	v_add_f64 v[2:3], v[4:5], v[2:3]
	v_fma_f64 v[4:5], v[97:98], s[30:31], -v[141:142]
	s_delay_alu instid0(VALU_DEP_1) | instskip(SKIP_1) | instid1(VALU_DEP_1)
	v_add_f64 v[2:3], v[4:5], v[2:3]
	v_fma_f64 v[4:5], v[103:104], s[38:39], v[139:140]
	v_add_f64 v[0:1], v[4:5], v[0:1]
	s_waitcnt vmcnt(1)
	s_delay_alu instid0(VALU_DEP_3) | instskip(NEXT) | instid1(VALU_DEP_2)
	v_mul_f64 v[4:5], v[2:3], v[6:7]
	v_mul_f64 v[6:7], v[0:1], v[6:7]
	s_waitcnt vmcnt(0)
	s_delay_alu instid0(VALU_DEP_2) | instskip(SKIP_2) | instid1(VALU_DEP_4)
	v_fma_f64 v[14:15], v[0:1], v[8:9], v[4:5]
	v_fma_f64 v[0:1], v[55:56], s[22:23], v[165:166]
	v_fma_f64 v[4:5], v[67:68], s[26:27], -v[167:168]
	v_fma_f64 v[12:13], v[2:3], v[8:9], -v[6:7]
	v_fma_f64 v[2:3], v[63:64], s[42:43], v[163:164]
	s_delay_alu instid0(VALU_DEP_4)
	v_add_f64 v[0:1], v[39:40], v[0:1]
	s_clause 0x1
	scratch_load_b64 v[6:7], off, off offset:340
	scratch_load_b64 v[8:9], off, off offset:332
	v_add_f64 v[0:1], v[2:3], v[0:1]
	v_fma_f64 v[2:3], v[71:72], s[36:37], v[197:198]
	s_delay_alu instid0(VALU_DEP_1) | instskip(SKIP_1) | instid1(VALU_DEP_1)
	v_add_f64 v[0:1], v[2:3], v[0:1]
	v_fma_f64 v[2:3], v[75:76], s[48:49], v[201:202]
	v_add_f64 v[0:1], v[2:3], v[0:1]
	v_fma_f64 v[2:3], v[77:78], s[34:35], v[205:206]
	s_delay_alu instid0(VALU_DEP_1) | instskip(SKIP_1) | instid1(VALU_DEP_1)
	v_add_f64 v[0:1], v[2:3], v[0:1]
	v_fma_f64 v[2:3], v[83:84], s[24:25], v[209:210]
	v_add_f64 v[0:1], v[2:3], v[0:1]
	v_fma_f64 v[2:3], v[65:66], s[14:15], -v[191:192]
	s_delay_alu instid0(VALU_DEP_1) | instskip(NEXT) | instid1(VALU_DEP_1)
	v_add_f64 v[2:3], v[37:38], v[2:3]
	v_add_f64 v[2:3], v[4:5], v[2:3]
	v_fma_f64 v[4:5], v[73:74], s[20:21], -v[199:200]
	s_delay_alu instid0(VALU_DEP_1) | instskip(SKIP_1) | instid1(VALU_DEP_1)
	v_add_f64 v[2:3], v[4:5], v[2:3]
	v_fma_f64 v[4:5], v[79:80], s[6:7], -v[203:204]
	v_add_f64 v[2:3], v[4:5], v[2:3]
	v_fma_f64 v[4:5], v[81:82], s[28:29], -v[207:208]
	s_delay_alu instid0(VALU_DEP_1) | instskip(SKIP_1) | instid1(VALU_DEP_1)
	v_add_f64 v[2:3], v[4:5], v[2:3]
	v_fma_f64 v[4:5], v[87:88], s[10:11], -v[211:212]
	v_add_f64 v[2:3], v[4:5], v[2:3]
	v_fma_f64 v[4:5], v[89:90], s[54:55], v[213:214]
	s_delay_alu instid0(VALU_DEP_1) | instskip(SKIP_1) | instid1(VALU_DEP_1)
	v_add_f64 v[0:1], v[4:5], v[0:1]
	v_fma_f64 v[4:5], v[95:96], s[30:31], -v[215:216]
	v_add_f64 v[2:3], v[4:5], v[2:3]
	v_fma_f64 v[4:5], v[97:98], s[18:19], -v[217:218]
	s_delay_alu instid0(VALU_DEP_1) | instskip(SKIP_1) | instid1(VALU_DEP_1)
	v_add_f64 v[2:3], v[4:5], v[2:3]
	v_fma_f64 v[4:5], v[103:104], s[16:17], v[219:220]
	v_add_f64 v[0:1], v[4:5], v[0:1]
	s_waitcnt vmcnt(1)
	s_delay_alu instid0(VALU_DEP_3) | instskip(NEXT) | instid1(VALU_DEP_2)
	v_mul_f64 v[4:5], v[2:3], v[6:7]
	v_mul_f64 v[6:7], v[0:1], v[6:7]
	s_waitcnt vmcnt(0)
	s_delay_alu instid0(VALU_DEP_2)
	v_fma_f64 v[205:206], v[0:1], v[8:9], v[4:5]
	scratch_load_b64 v[4:5], off, off offset:112 ; 8-byte Folded Reload
	v_fma_f64 v[203:204], v[2:3], v[8:9], -v[6:7]
	s_clause 0x1
	scratch_load_b64 v[2:3], off, off offset:104
	scratch_load_b64 v[6:7], off, off offset:292
	s_waitcnt vmcnt(1)
	v_mul_f64 v[0:1], v[2:3], v[247:248]
	s_delay_alu instid0(VALU_DEP_1)
	v_fma_f64 v[8:9], v[245:246], v[4:5], v[0:1]
	v_mul_f64 v[0:1], v[4:5], v[247:248]
	scratch_load_b64 v[4:5], off, off offset:428 ; 8-byte Folded Reload
	v_fma_f64 v[16:17], v[245:246], v[2:3], -v[0:1]
	s_clause 0x1
	scratch_load_b64 v[0:1], off, off offset:420
	scratch_load_b64 v[2:3], off, off offset:476
	s_waitcnt vmcnt(1)
	v_add_f64 v[0:1], v[37:38], v[0:1]
	s_waitcnt vmcnt(0)
	s_delay_alu instid0(VALU_DEP_1) | instskip(SKIP_3) | instid1(VALU_DEP_1)
	v_add_f64 v[0:1], v[0:1], v[2:3]
	scratch_load_b64 v[2:3], off, off offset:380 ; 8-byte Folded Reload
	s_waitcnt vmcnt(0)
	v_add_f64 v[2:3], v[39:40], v[2:3]
	v_add_f64 v[2:3], v[2:3], v[4:5]
	scratch_load_b64 v[4:5], off, off offset:508 ; 8-byte Folded Reload
	s_waitcnt vmcnt(0)
	v_add_f64 v[0:1], v[0:1], v[4:5]
	scratch_load_b64 v[4:5], off, off offset:500 ; 8-byte Folded Reload
	s_waitcnt vmcnt(0)
	v_add_f64 v[2:3], v[2:3], v[4:5]
	scratch_load_b64 v[4:5], off, off offset:556 ; 8-byte Folded Reload
	s_waitcnt vmcnt(0)
	v_add_f64 v[0:1], v[0:1], v[4:5]
	scratch_load_b64 v[4:5], off, off offset:548 ; 8-byte Folded Reload
	s_waitcnt vmcnt(0)
	v_add_f64 v[2:3], v[2:3], v[4:5]
	scratch_load_b64 v[4:5], off, off offset:572 ; 8-byte Folded Reload
	s_waitcnt vmcnt(0)
	v_add_f64 v[0:1], v[0:1], v[4:5]
	scratch_load_b64 v[4:5], off, off offset:564 ; 8-byte Folded Reload
	v_add_f64 v[0:1], v[0:1], v[239:240]
	s_delay_alu instid0(VALU_DEP_1) | instskip(SKIP_4) | instid1(VALU_DEP_1)
	v_add_f64 v[0:1], v[0:1], v[181:182]
	s_waitcnt vmcnt(0)
	v_add_f64 v[2:3], v[2:3], v[4:5]
	scratch_load_b64 v[4:5], off, off offset:724 ; 8-byte Folded Reload
	v_add_f64 v[2:3], v[2:3], v[241:242]
	v_add_f64 v[2:3], v[2:3], v[229:230]
	s_waitcnt vmcnt(0)
	v_add_f64 v[0:1], v[0:1], v[4:5]
	scratch_load_b64 v[4:5], off, off offset:716 ; 8-byte Folded Reload
	s_waitcnt vmcnt(0)
	v_add_f64 v[2:3], v[2:3], v[4:5]
	scratch_load_b64 v[4:5], off, off offset:708 ; 8-byte Folded Reload
	;; [unrolled: 3-line block ×3, first 2 shown]
	v_add_f64 v[0:1], v[0:1], v[223:224]
	s_delay_alu instid0(VALU_DEP_1) | instskip(SKIP_4) | instid1(VALU_DEP_1)
	v_add_f64 v[0:1], v[0:1], v[243:244]
	s_waitcnt vmcnt(0)
	v_add_f64 v[2:3], v[2:3], v[4:5]
	scratch_load_b64 v[4:5], off, off offset:524 ; 8-byte Folded Reload
	v_add_f64 v[2:3], v[2:3], v[231:232]
	v_add_f64 v[2:3], v[2:3], v[249:250]
	s_waitcnt vmcnt(0)
	v_add_f64 v[0:1], v[0:1], v[4:5]
	scratch_load_b64 v[4:5], off, off offset:516 ; 8-byte Folded Reload
	s_waitcnt vmcnt(0)
	v_add_f64 v[2:3], v[2:3], v[4:5]
	scratch_load_b64 v[4:5], off, off offset:436 ; 8-byte Folded Reload
	;; [unrolled: 3-line block ×9, first 2 shown]
	s_waitcnt vmcnt(0)
	v_add_f64 v[2:3], v[2:3], v[4:5]
	v_mul_f64 v[4:5], v[0:1], v[6:7]
	s_delay_alu instid0(VALU_DEP_2) | instskip(NEXT) | instid1(VALU_DEP_2)
	v_mul_f64 v[6:7], v[2:3], v[6:7]
	v_fma_f64 v[59:60], v[2:3], v[10:11], v[4:5]
	s_clause 0x1
	scratch_load_b64 v[2:3], off, off offset:588
	scratch_load_b64 v[4:5], off, off offset:604
	v_fma_f64 v[57:58], v[0:1], v[10:11], -v[6:7]
	s_clause 0x2
	scratch_load_b64 v[0:1], off, off offset:580
	scratch_load_b64 v[6:7], off, off offset:184
	;; [unrolled: 1-line block ×3, first 2 shown]
	s_waitcnt vmcnt(4)
	v_fma_f64 v[2:3], v[63:64], s[22:23], v[2:3]
	s_waitcnt vmcnt(3)
	v_fma_f64 v[4:5], v[67:68], s[14:15], -v[4:5]
	s_waitcnt vmcnt(2)
	v_fma_f64 v[0:1], v[55:56], s[44:45], v[0:1]
	s_delay_alu instid0(VALU_DEP_1) | instskip(NEXT) | instid1(VALU_DEP_1)
	v_add_f64 v[0:1], v[39:40], v[0:1]
	v_add_f64 v[0:1], v[2:3], v[0:1]
	scratch_load_b64 v[2:3], off, off offset:596 ; 8-byte Folded Reload
	s_waitcnt vmcnt(0)
	v_fma_f64 v[2:3], v[65:66], s[18:19], -v[2:3]
	s_delay_alu instid0(VALU_DEP_1) | instskip(NEXT) | instid1(VALU_DEP_1)
	v_add_f64 v[2:3], v[37:38], v[2:3]
	v_add_f64 v[2:3], v[4:5], v[2:3]
	scratch_load_b64 v[4:5], off, off offset:612 ; 8-byte Folded Reload
	s_waitcnt vmcnt(0)
	v_fma_f64 v[4:5], v[71:72], s[38:39], v[4:5]
	s_delay_alu instid0(VALU_DEP_1) | instskip(SKIP_3) | instid1(VALU_DEP_1)
	v_add_f64 v[0:1], v[4:5], v[0:1]
	scratch_load_b64 v[4:5], off, off offset:620 ; 8-byte Folded Reload
	s_waitcnt vmcnt(0)
	v_fma_f64 v[4:5], v[73:74], s[30:31], -v[4:5]
	v_add_f64 v[2:3], v[4:5], v[2:3]
	scratch_load_b64 v[4:5], off, off offset:628 ; 8-byte Folded Reload
	s_waitcnt vmcnt(0)
	v_fma_f64 v[4:5], v[75:76], s[42:43], v[4:5]
	s_delay_alu instid0(VALU_DEP_1) | instskip(SKIP_3) | instid1(VALU_DEP_1)
	v_add_f64 v[0:1], v[4:5], v[0:1]
	scratch_load_b64 v[4:5], off, off offset:636 ; 8-byte Folded Reload
	s_waitcnt vmcnt(0)
	v_fma_f64 v[4:5], v[79:80], s[26:27], -v[4:5]
	v_add_f64 v[2:3], v[4:5], v[2:3]
	scratch_load_b64 v[4:5], off, off offset:644 ; 8-byte Folded Reload
	s_waitcnt vmcnt(0)
	v_fma_f64 v[4:5], v[77:78], s[52:53], v[4:5]
	s_delay_alu instid0(VALU_DEP_1) | instskip(SKIP_3) | instid1(VALU_DEP_1)
	v_add_f64 v[0:1], v[4:5], v[0:1]
	scratch_load_b64 v[4:5], off, off offset:652 ; 8-byte Folded Reload
	s_waitcnt vmcnt(0)
	v_fma_f64 v[4:5], v[81:82], s[10:11], -v[4:5]
	v_add_f64 v[2:3], v[4:5], v[2:3]
	scratch_load_b64 v[4:5], off, off offset:660 ; 8-byte Folded Reload
	s_waitcnt vmcnt(0)
	v_fma_f64 v[4:5], v[83:84], s[36:37], v[4:5]
	s_delay_alu instid0(VALU_DEP_1) | instskip(SKIP_3) | instid1(VALU_DEP_1)
	v_add_f64 v[0:1], v[4:5], v[0:1]
	scratch_load_b64 v[4:5], off, off offset:668 ; 8-byte Folded Reload
	s_waitcnt vmcnt(0)
	v_fma_f64 v[4:5], v[87:88], s[20:21], -v[4:5]
	v_add_f64 v[2:3], v[4:5], v[2:3]
	scratch_load_b64 v[4:5], off, off offset:700 ; 8-byte Folded Reload
	s_waitcnt vmcnt(0)
	v_fma_f64 v[4:5], v[89:90], s[50:51], v[4:5]
	s_delay_alu instid0(VALU_DEP_1) | instskip(SKIP_1) | instid1(VALU_DEP_1)
	v_add_f64 v[0:1], v[4:5], v[0:1]
	v_fma_f64 v[4:5], v[95:96], s[28:29], -v[253:254]
	v_add_f64 v[2:3], v[4:5], v[2:3]
	v_fma_f64 v[4:5], v[97:98], s[6:7], -v[227:228]
	s_delay_alu instid0(VALU_DEP_1) | instskip(SKIP_1) | instid1(VALU_DEP_1)
	v_add_f64 v[4:5], v[4:5], v[2:3]
	v_fma_f64 v[2:3], v[103:104], s[48:49], v[189:190]
	v_add_f64 v[0:1], v[2:3], v[0:1]
	s_delay_alu instid0(VALU_DEP_3) | instskip(NEXT) | instid1(VALU_DEP_2)
	v_mul_f64 v[2:3], v[4:5], v[6:7]
	v_mul_f64 v[6:7], v[0:1], v[6:7]
	s_delay_alu instid0(VALU_DEP_2) | instskip(NEXT) | instid1(VALU_DEP_2)
	v_fma_f64 v[2:3], v[0:1], v[10:11], v[2:3]
	v_fma_f64 v[0:1], v[4:5], v[10:11], -v[6:7]
	s_clause 0x2
	scratch_load_b64 v[4:5], off, off offset:144
	scratch_load_b64 v[6:7], off, off offset:152
	scratch_load_b64 v[10:11], off, off offset:168
	s_waitcnt vmcnt(2)
	v_fma_f64 v[4:5], v[55:56], s[8:9], v[4:5]
	s_waitcnt vmcnt(1)
	v_fma_f64 v[6:7], v[63:64], s[44:45], v[6:7]
	s_waitcnt vmcnt(0)
	v_fma_f64 v[10:11], v[67:68], s[18:19], -v[10:11]
	s_delay_alu instid0(VALU_DEP_3) | instskip(NEXT) | instid1(VALU_DEP_1)
	v_add_f64 v[4:5], v[39:40], v[4:5]
	v_add_f64 v[4:5], v[6:7], v[4:5]
	scratch_load_b64 v[6:7], off, off offset:160 ; 8-byte Folded Reload
	s_waitcnt vmcnt(0)
	v_fma_f64 v[6:7], v[65:66], s[6:7], -v[6:7]
	s_delay_alu instid0(VALU_DEP_1) | instskip(NEXT) | instid1(VALU_DEP_1)
	v_add_f64 v[6:7], v[37:38], v[6:7]
	v_add_f64 v[6:7], v[10:11], v[6:7]
	scratch_load_b64 v[10:11], off, off offset:176 ; 8-byte Folded Reload
	s_waitcnt vmcnt(0)
	v_fma_f64 v[10:11], v[71:72], s[34:35], v[10:11]
	s_delay_alu instid0(VALU_DEP_1) | instskip(SKIP_3) | instid1(VALU_DEP_1)
	v_add_f64 v[4:5], v[10:11], v[4:5]
	scratch_load_b64 v[10:11], off, off offset:192 ; 8-byte Folded Reload
	s_waitcnt vmcnt(0)
	v_fma_f64 v[10:11], v[73:74], s[28:29], -v[10:11]
	v_add_f64 v[6:7], v[10:11], v[6:7]
	scratch_load_b64 v[10:11], off, off offset:200 ; 8-byte Folded Reload
	s_waitcnt vmcnt(0)
	v_fma_f64 v[10:11], v[75:76], s[22:23], v[10:11]
	s_delay_alu instid0(VALU_DEP_1) | instskip(SKIP_3) | instid1(VALU_DEP_1)
	v_add_f64 v[4:5], v[10:11], v[4:5]
	scratch_load_b64 v[10:11], off, off offset:208 ; 8-byte Folded Reload
	s_waitcnt vmcnt(0)
	v_fma_f64 v[10:11], v[79:80], s[14:15], -v[10:11]
	;; [unrolled: 9-line block ×5, first 2 shown]
	v_add_f64 v[6:7], v[10:11], v[6:7]
	scratch_load_b64 v[10:11], off, off offset:268 ; 8-byte Folded Reload
	s_waitcnt vmcnt(0)
	v_fma_f64 v[10:11], v[97:98], s[26:27], -v[10:11]
	s_delay_alu instid0(VALU_DEP_1) | instskip(SKIP_3) | instid1(VALU_DEP_1)
	v_add_f64 v[10:11], v[10:11], v[6:7]
	scratch_load_b64 v[6:7], off, off offset:276 ; 8-byte Folded Reload
	s_waitcnt vmcnt(0)
	v_fma_f64 v[6:7], v[103:104], s[42:43], v[6:7]
	v_add_f64 v[4:5], v[6:7], v[4:5]
	v_mul_f64 v[6:7], v[10:11], v[18:19]
	s_delay_alu instid0(VALU_DEP_2) | instskip(NEXT) | instid1(VALU_DEP_2)
	v_mul_f64 v[18:19], v[4:5], v[18:19]
	v_fma_f64 v[6:7], v[4:5], v[20:21], v[6:7]
	s_delay_alu instid0(VALU_DEP_2)
	v_fma_f64 v[4:5], v[10:11], v[20:21], -v[18:19]
	s_clause 0x2
	scratch_load_b64 v[10:11], off, off offset:372
	scratch_load_b64 v[18:19], off, off offset:412
	;; [unrolled: 1-line block ×3, first 2 shown]
	s_waitcnt vmcnt(2)
	v_fma_f64 v[10:11], v[55:56], s[34:35], v[10:11]
	s_waitcnt vmcnt(1)
	v_fma_f64 v[18:19], v[65:66], s[28:29], -v[18:19]
	s_waitcnt vmcnt(0)
	v_fma_f64 v[20:21], v[63:64], s[38:39], v[20:21]
	s_delay_alu instid0(VALU_DEP_3) | instskip(NEXT) | instid1(VALU_DEP_3)
	v_add_f64 v[10:11], v[39:40], v[10:11]
	v_add_f64 v[18:19], v[37:38], v[18:19]
	scratch_load_b64 v[37:38], off, off offset:460 ; 8-byte Folded Reload
	v_fma_f64 v[39:40], v[87:88], s[6:7], -v[185:186]
	v_add_f64 v[10:11], v[20:21], v[10:11]
	v_add_f64 v[18:19], v[27:28], v[18:19]
	s_clause 0x1
	scratch_load_b64 v[27:28], off, off offset:468
	scratch_load_b64 v[20:21], off, off offset:404
	s_waitcnt vmcnt(2)
	v_fma_f64 v[37:38], v[73:74], s[26:27], -v[37:38]
	s_waitcnt vmcnt(1)
	v_fma_f64 v[27:28], v[79:80], s[20:21], -v[27:28]
	s_delay_alu instid0(VALU_DEP_2)
	v_add_f64 v[18:19], v[37:38], v[18:19]
	scratch_load_b64 v[37:38], off, off offset:484 ; 8-byte Folded Reload
	v_add_f64 v[18:19], v[27:28], v[18:19]
	scratch_load_b64 v[27:28], off, off offset:444 ; 8-byte Folded Reload
	s_waitcnt vmcnt(2)
	v_fma_f64 v[20:21], v[71:72], s[40:41], v[20:21]
	s_delay_alu instid0(VALU_DEP_1)
	v_add_f64 v[10:11], v[20:21], v[10:11]
	scratch_load_b64 v[20:21], off, off offset:452 ; 8-byte Folded Reload
	s_waitcnt vmcnt(2)
	v_fma_f64 v[37:38], v[83:84], s[8:9], v[37:38]
	s_waitcnt vmcnt(1)
	v_fma_f64 v[27:28], v[77:78], s[16:17], v[27:28]
	;; [unrolled: 2-line block ×3, first 2 shown]
	s_delay_alu instid0(VALU_DEP_1) | instskip(SKIP_3) | instid1(VALU_DEP_2)
	v_add_f64 v[10:11], v[20:21], v[10:11]
	scratch_load_b64 v[20:21], off, off offset:492 ; 8-byte Folded Reload
	v_add_f64 v[10:11], v[27:28], v[10:11]
	v_fma_f64 v[27:28], v[95:96], s[14:15], -v[235:236]
	v_add_f64 v[10:11], v[37:38], v[10:11]
	v_fma_f64 v[37:38], v[103:104], s[24:25], v[237:238]
	s_waitcnt vmcnt(0)
	v_fma_f64 v[20:21], v[81:82], s[18:19], -v[20:21]
	s_delay_alu instid0(VALU_DEP_1) | instskip(SKIP_1) | instid1(VALU_DEP_2)
	v_add_f64 v[18:19], v[20:21], v[18:19]
	v_fma_f64 v[20:21], v[89:90], s[22:23], v[183:184]
	v_add_f64 v[18:19], v[39:40], v[18:19]
	v_fma_f64 v[39:40], v[97:98], s[10:11], -v[233:234]
	s_delay_alu instid0(VALU_DEP_3) | instskip(NEXT) | instid1(VALU_DEP_3)
	v_add_f64 v[10:11], v[20:21], v[10:11]
	v_add_f64 v[18:19], v[27:28], v[18:19]
	s_delay_alu instid0(VALU_DEP_2) | instskip(NEXT) | instid1(VALU_DEP_2)
	v_add_f64 v[10:11], v[37:38], v[10:11]
	v_add_f64 v[18:19], v[39:40], v[18:19]
	s_delay_alu instid0(VALU_DEP_1) | instskip(NEXT) | instid1(VALU_DEP_3)
	v_mul_f64 v[20:21], v[18:19], v[8:9]
	v_mul_f64 v[8:9], v[10:11], v[8:9]
	s_delay_alu instid0(VALU_DEP_2) | instskip(NEXT) | instid1(VALU_DEP_2)
	v_fma_f64 v[10:11], v[10:11], v[16:17], v[20:21]
	v_fma_f64 v[8:9], v[18:19], v[16:17], -v[8:9]
	scratch_load_b32 v16, off, off offset:232 ; 4-byte Folded Reload
	s_waitcnt vmcnt(0)
	v_mul_hi_u32 v16, 0x226b903, v16
	s_delay_alu instid0(VALU_DEP_1) | instskip(NEXT) | instid1(VALU_DEP_1)
	v_mad_u32_u24 v20, 0x121, v16, v255
	v_mad_u64_u32 v[16:17], null, s12, v20, 0
	v_add_nc_u32_e32 v27, 17, v20
	s_delay_alu instid0(VALU_DEP_2) | instskip(NEXT) | instid1(VALU_DEP_1)
	v_mad_u64_u32 v[18:19], null, s13, v20, v[17:18]
	v_mov_b32_e32 v17, v18
	scratch_load_b64 v[18:19], off, off     ; 8-byte Folded Reload
	v_lshlrev_b64 v[16:17], 4, v[16:17]
	s_waitcnt vmcnt(0)
	v_lshlrev_b64 v[18:19], 4, v[18:19]
	s_delay_alu instid0(VALU_DEP_1) | instskip(NEXT) | instid1(VALU_DEP_2)
	v_add_co_u32 v21, vcc_lo, s0, v18
	v_add_co_ci_u32_e32 v22, vcc_lo, s1, v19, vcc_lo
	s_delay_alu instid0(VALU_DEP_2) | instskip(NEXT) | instid1(VALU_DEP_2)
	v_add_co_u32 v16, vcc_lo, v21, v16
	v_add_co_ci_u32_e32 v17, vcc_lo, v22, v17, vcc_lo
	global_store_b128 v[16:17], v[57:60], off
	v_mad_u64_u32 v[16:17], null, s12, v27, 0
	s_delay_alu instid0(VALU_DEP_1) | instskip(SKIP_1) | instid1(VALU_DEP_2)
	v_mad_u64_u32 v[18:19], null, s13, v27, v[17:18]
	v_add_nc_u32_e32 v19, 0xaa, v20
	v_dual_mov_b32 v17, v18 :: v_dual_add_nc_u32 v18, 51, v20
	s_delay_alu instid0(VALU_DEP_1) | instskip(NEXT) | instid1(VALU_DEP_1)
	v_lshlrev_b64 v[16:17], 4, v[16:17]
	v_add_co_u32 v16, vcc_lo, v21, v16
	s_delay_alu instid0(VALU_DEP_2) | instskip(SKIP_2) | instid1(VALU_DEP_1)
	v_add_co_ci_u32_e32 v17, vcc_lo, v22, v17, vcc_lo
	global_store_b128 v[16:17], v[4:7], off
	v_add_nc_u32_e32 v16, 34, v20
	v_mad_u64_u32 v[4:5], null, s12, v16, 0
	s_delay_alu instid0(VALU_DEP_1) | instskip(NEXT) | instid1(VALU_DEP_1)
	v_mad_u64_u32 v[6:7], null, s13, v16, v[5:6]
	v_mov_b32_e32 v5, v6
	v_mad_u64_u32 v[6:7], null, s12, v18, 0
	s_delay_alu instid0(VALU_DEP_2) | instskip(NEXT) | instid1(VALU_DEP_2)
	v_lshlrev_b64 v[4:5], 4, v[4:5]
	v_mad_u64_u32 v[16:17], null, s13, v18, v[7:8]
	s_delay_alu instid0(VALU_DEP_2) | instskip(NEXT) | instid1(VALU_DEP_3)
	v_add_co_u32 v4, vcc_lo, v21, v4
	v_add_co_ci_u32_e32 v5, vcc_lo, v22, v5, vcc_lo
	v_add_nc_u32_e32 v17, 0x55, v20
	s_delay_alu instid0(VALU_DEP_4) | instskip(SKIP_3) | instid1(VALU_DEP_2)
	v_dual_mov_b32 v7, v16 :: v_dual_add_nc_u32 v18, 0x99, v20
	global_store_b128 v[4:5], v[0:3], off
	v_add_nc_u32_e32 v16, 0x44, v20
	v_lshlrev_b64 v[6:7], 4, v[6:7]
	v_mad_u64_u32 v[0:1], null, s12, v16, 0
	s_delay_alu instid0(VALU_DEP_2) | instskip(NEXT) | instid1(VALU_DEP_3)
	v_add_co_u32 v2, vcc_lo, v21, v6
	v_add_co_ci_u32_e32 v3, vcc_lo, v22, v7, vcc_lo
	global_store_b128 v[2:3], v[8:11], off
	v_mad_u64_u32 v[2:3], null, s12, v17, 0
	v_add_nc_u32_e32 v10, 0x66, v20
	v_add_nc_u32_e32 v11, 0x88, v20
	s_delay_alu instid0(VALU_DEP_3) | instskip(NEXT) | instid1(VALU_DEP_3)
	v_mad_u64_u32 v[4:5], null, s13, v16, v[1:2]
	v_mad_u64_u32 v[5:6], null, s12, v10, 0
	s_delay_alu instid0(VALU_DEP_2) | instskip(SKIP_1) | instid1(VALU_DEP_3)
	v_mov_b32_e32 v1, v4
	v_mad_u64_u32 v[7:8], null, s13, v17, v[3:4]
	v_mov_b32_e32 v3, v6
	s_delay_alu instid0(VALU_DEP_3) | instskip(NEXT) | instid1(VALU_DEP_2)
	v_lshlrev_b64 v[0:1], 4, v[0:1]
	v_mad_u64_u32 v[8:9], null, s13, v10, v[3:4]
	v_add_nc_u32_e32 v10, 0x77, v20
	s_delay_alu instid0(VALU_DEP_3)
	v_add_co_u32 v0, vcc_lo, v21, v0
	v_mov_b32_e32 v3, v7
	v_add_co_ci_u32_e32 v1, vcc_lo, v22, v1, vcc_lo
	v_mov_b32_e32 v6, v8
	v_mad_u64_u32 v[7:8], null, s12, v10, 0
	global_store_b128 v[0:1], v[203:206], off
	v_lshlrev_b64 v[2:3], 4, v[2:3]
	v_lshlrev_b64 v[0:1], 4, v[5:6]
	v_mad_u64_u32 v[5:6], null, s12, v11, 0
	v_mov_b32_e32 v4, v8
	s_delay_alu instid0(VALU_DEP_4) | instskip(SKIP_1) | instid1(VALU_DEP_3)
	v_add_co_u32 v2, vcc_lo, v21, v2
	v_add_co_ci_u32_e32 v3, vcc_lo, v22, v3, vcc_lo
	v_mad_u64_u32 v[8:9], null, s13, v10, v[4:5]
	v_mov_b32_e32 v4, v6
	v_mad_u64_u32 v[9:10], null, s12, v18, 0
	v_add_co_u32 v0, vcc_lo, v21, v0
	v_add_co_ci_u32_e32 v1, vcc_lo, v22, v1, vcc_lo
	s_delay_alu instid0(VALU_DEP_4)
	v_mad_u64_u32 v[16:17], null, s13, v11, v[4:5]
	global_store_b128 v[2:3], v[12:15], off
	v_mad_u64_u32 v[2:3], null, s12, v19, 0
	global_store_b128 v[0:1], v[23:26], off
	v_dual_mov_b32 v0, v10 :: v_dual_add_nc_u32 v1, 0xbb, v20
	v_mov_b32_e32 v6, v16
	v_lshlrev_b64 v[7:8], 4, v[7:8]
	v_add_nc_u32_e32 v14, 0xee, v20
	v_add_nc_u32_e32 v15, 0xff, v20
	v_mad_u64_u32 v[10:11], null, s13, v18, v[0:1]
	v_mov_b32_e32 v0, v3
	v_mad_u64_u32 v[11:12], null, s12, v1, 0
	v_lshlrev_b64 v[3:4], 4, v[5:6]
	v_add_co_u32 v7, vcc_lo, v21, v7
	s_delay_alu instid0(VALU_DEP_4)
	v_mad_u64_u32 v[5:6], null, s13, v19, v[0:1]
	v_add_co_ci_u32_e32 v8, vcc_lo, v22, v8, vcc_lo
	v_lshlrev_b64 v[9:10], 4, v[9:10]
	v_mov_b32_e32 v0, v12
	v_add_co_u32 v12, vcc_lo, v21, v3
	v_mov_b32_e32 v3, v5
	v_add_co_ci_u32_e32 v13, vcc_lo, v22, v4, vcc_lo
	s_delay_alu instid0(VALU_DEP_4) | instskip(NEXT) | instid1(VALU_DEP_3)
	v_mad_u64_u32 v[4:5], null, s13, v1, v[0:1]
	v_lshlrev_b64 v[0:1], 4, v[2:3]
	v_add_co_u32 v2, vcc_lo, v21, v9
	s_clause 0x1
	global_store_b128 v[7:8], v[41:44], off
	global_store_b128 v[12:13], v[33:36], off
	v_add_co_ci_u32_e32 v3, vcc_lo, v22, v10, vcc_lo
	v_add_nc_u32_e32 v10, 0xcc, v20
	v_add_nc_u32_e32 v13, 0xdd, v20
	;; [unrolled: 1-line block ×3, first 2 shown]
	scratch_load_b128 v[17:20], off, off offset:88 ; 16-byte Folded Reload
	v_mov_b32_e32 v12, v4
	v_add_co_u32 v0, vcc_lo, v21, v0
	v_add_co_ci_u32_e32 v1, vcc_lo, v22, v1, vcc_lo
	v_mad_u64_u32 v[4:5], null, s12, v10, 0
	v_mad_u64_u32 v[6:7], null, s12, v14, 0
	global_store_b128 v[2:3], v[29:32], off
	v_lshlrev_b64 v[2:3], 4, v[11:12]
	global_store_b128 v[0:1], v[131:134], off
	v_mad_u64_u32 v[0:1], null, s12, v13, 0
	v_mad_u64_u32 v[8:9], null, s13, v10, v[5:6]
	v_add_co_u32 v2, vcc_lo, v21, v2
	v_add_co_ci_u32_e32 v3, vcc_lo, v22, v3, vcc_lo
	s_delay_alu instid0(VALU_DEP_2) | instskip(SKIP_3) | instid1(VALU_DEP_3)
	v_mad_u64_u32 v[9:10], null, s13, v13, v[1:2]
	v_mov_b32_e32 v1, v7
	v_mad_u64_u32 v[10:11], null, s12, v15, 0
	v_mov_b32_e32 v5, v8
	v_mad_u64_u32 v[12:13], null, s13, v14, v[1:2]
	v_mad_u64_u32 v[13:14], null, s12, v16, 0
	v_mov_b32_e32 v1, v9
	s_delay_alu instid0(VALU_DEP_3) | instskip(NEXT) | instid1(VALU_DEP_2)
	v_mov_b32_e32 v7, v12
	v_lshlrev_b64 v[0:1], 4, v[0:1]
	s_waitcnt vmcnt(0)
	global_store_b128 v[2:3], v[17:20], off
	v_lshlrev_b64 v[3:4], 4, v[4:5]
	v_mov_b32_e32 v2, v11
	v_lshlrev_b64 v[5:6], 4, v[6:7]
	s_delay_alu instid0(VALU_DEP_2) | instskip(SKIP_4) | instid1(VALU_DEP_3)
	v_mad_u64_u32 v[8:9], null, s13, v15, v[2:3]
	v_mov_b32_e32 v2, v14
	v_add_co_u32 v3, vcc_lo, v21, v3
	v_add_co_ci_u32_e32 v4, vcc_lo, v22, v4, vcc_lo
	v_add_co_u32 v0, vcc_lo, v21, v0
	v_mad_u64_u32 v[14:15], null, s13, v16, v[2:3]
	v_mov_b32_e32 v11, v8
	v_add_co_ci_u32_e32 v1, vcc_lo, v22, v1, vcc_lo
	v_add_co_u32 v5, vcc_lo, v21, v5
	s_delay_alu instid0(VALU_DEP_3)
	v_lshlrev_b64 v[7:8], 4, v[10:11]
	v_lshlrev_b64 v[9:10], 4, v[13:14]
	scratch_load_b128 v[11:14], off, off offset:72 ; 16-byte Folded Reload
	v_add_co_ci_u32_e32 v6, vcc_lo, v22, v6, vcc_lo
	v_add_co_u32 v7, vcc_lo, v21, v7
	v_add_co_ci_u32_e32 v8, vcc_lo, v22, v8, vcc_lo
	v_add_co_u32 v9, vcc_lo, v21, v9
	v_add_co_ci_u32_e32 v10, vcc_lo, v22, v10, vcc_lo
	s_waitcnt vmcnt(0)
	global_store_b128 v[3:4], v[11:14], off
	scratch_load_b128 v[11:14], off, off offset:56 ; 16-byte Folded Reload
	s_waitcnt vmcnt(0)
	global_store_b128 v[0:1], v[11:14], off
	scratch_load_b128 v[0:3], off, off offset:40 ; 16-byte Folded Reload
	;; [unrolled: 3-line block ×4, first 2 shown]
	s_waitcnt vmcnt(0)
	global_store_b128 v[9:10], v[0:3], off
.LBB0_50:
	s_endpgm
	.section	.rodata,"a",@progbits
	.p2align	6, 0x0
	.amdhsa_kernel fft_rtc_fwd_len289_factors_17_17_wgs_119_tpt_17_dp_ip_CI_sbcc_twdbase5_3step_dirReg_intrinsicRead
		.amdhsa_group_segment_fixed_size 0
		.amdhsa_private_segment_fixed_size 736
		.amdhsa_kernarg_size 96
		.amdhsa_user_sgpr_count 15
		.amdhsa_user_sgpr_dispatch_ptr 0
		.amdhsa_user_sgpr_queue_ptr 0
		.amdhsa_user_sgpr_kernarg_segment_ptr 1
		.amdhsa_user_sgpr_dispatch_id 0
		.amdhsa_user_sgpr_private_segment_size 0
		.amdhsa_wavefront_size32 1
		.amdhsa_uses_dynamic_stack 0
		.amdhsa_enable_private_segment 1
		.amdhsa_system_sgpr_workgroup_id_x 1
		.amdhsa_system_sgpr_workgroup_id_y 0
		.amdhsa_system_sgpr_workgroup_id_z 0
		.amdhsa_system_sgpr_workgroup_info 0
		.amdhsa_system_vgpr_workitem_id 0
		.amdhsa_next_free_vgpr 256
		.amdhsa_next_free_sgpr 59
		.amdhsa_reserve_vcc 1
		.amdhsa_float_round_mode_32 0
		.amdhsa_float_round_mode_16_64 0
		.amdhsa_float_denorm_mode_32 3
		.amdhsa_float_denorm_mode_16_64 3
		.amdhsa_dx10_clamp 1
		.amdhsa_ieee_mode 1
		.amdhsa_fp16_overflow 0
		.amdhsa_workgroup_processor_mode 1
		.amdhsa_memory_ordered 1
		.amdhsa_forward_progress 0
		.amdhsa_shared_vgpr_count 0
		.amdhsa_exception_fp_ieee_invalid_op 0
		.amdhsa_exception_fp_denorm_src 0
		.amdhsa_exception_fp_ieee_div_zero 0
		.amdhsa_exception_fp_ieee_overflow 0
		.amdhsa_exception_fp_ieee_underflow 0
		.amdhsa_exception_fp_ieee_inexact 0
		.amdhsa_exception_int_div_zero 0
	.end_amdhsa_kernel
	.text
.Lfunc_end0:
	.size	fft_rtc_fwd_len289_factors_17_17_wgs_119_tpt_17_dp_ip_CI_sbcc_twdbase5_3step_dirReg_intrinsicRead, .Lfunc_end0-fft_rtc_fwd_len289_factors_17_17_wgs_119_tpt_17_dp_ip_CI_sbcc_twdbase5_3step_dirReg_intrinsicRead
                                        ; -- End function
	.section	.AMDGPU.csdata,"",@progbits
; Kernel info:
; codeLenInByte = 23976
; NumSgprs: 61
; NumVgprs: 256
; ScratchSize: 736
; MemoryBound: 0
; FloatMode: 240
; IeeeMode: 1
; LDSByteSize: 0 bytes/workgroup (compile time only)
; SGPRBlocks: 7
; VGPRBlocks: 31
; NumSGPRsForWavesPerEU: 61
; NumVGPRsForWavesPerEU: 256
; Occupancy: 5
; WaveLimiterHint : 1
; COMPUTE_PGM_RSRC2:SCRATCH_EN: 1
; COMPUTE_PGM_RSRC2:USER_SGPR: 15
; COMPUTE_PGM_RSRC2:TRAP_HANDLER: 0
; COMPUTE_PGM_RSRC2:TGID_X_EN: 1
; COMPUTE_PGM_RSRC2:TGID_Y_EN: 0
; COMPUTE_PGM_RSRC2:TGID_Z_EN: 0
; COMPUTE_PGM_RSRC2:TIDIG_COMP_CNT: 0
	.text
	.p2alignl 7, 3214868480
	.fill 96, 4, 3214868480
	.type	__hip_cuid_3b57ae24599204db,@object ; @__hip_cuid_3b57ae24599204db
	.section	.bss,"aw",@nobits
	.globl	__hip_cuid_3b57ae24599204db
__hip_cuid_3b57ae24599204db:
	.byte	0                               ; 0x0
	.size	__hip_cuid_3b57ae24599204db, 1

	.ident	"AMD clang version 19.0.0git (https://github.com/RadeonOpenCompute/llvm-project roc-6.4.0 25133 c7fe45cf4b819c5991fe208aaa96edf142730f1d)"
	.section	".note.GNU-stack","",@progbits
	.addrsig
	.addrsig_sym __hip_cuid_3b57ae24599204db
	.amdgpu_metadata
---
amdhsa.kernels:
  - .args:
      - .actual_access:  read_only
        .address_space:  global
        .offset:         0
        .size:           8
        .value_kind:     global_buffer
      - .address_space:  global
        .offset:         8
        .size:           8
        .value_kind:     global_buffer
      - .offset:         16
        .size:           8
        .value_kind:     by_value
      - .actual_access:  read_only
        .address_space:  global
        .offset:         24
        .size:           8
        .value_kind:     global_buffer
      - .actual_access:  read_only
        .address_space:  global
        .offset:         32
        .size:           8
        .value_kind:     global_buffer
      - .offset:         40
        .size:           8
        .value_kind:     by_value
      - .actual_access:  read_only
        .address_space:  global
        .offset:         48
        .size:           8
        .value_kind:     global_buffer
      - .actual_access:  read_only
        .address_space:  global
        .offset:         56
        .size:           8
        .value_kind:     global_buffer
      - .offset:         64
        .size:           4
        .value_kind:     by_value
      - .actual_access:  read_only
        .address_space:  global
        .offset:         72
        .size:           8
        .value_kind:     global_buffer
      - .actual_access:  read_only
        .address_space:  global
        .offset:         80
        .size:           8
        .value_kind:     global_buffer
      - .address_space:  global
        .offset:         88
        .size:           8
        .value_kind:     global_buffer
    .group_segment_fixed_size: 0
    .kernarg_segment_align: 8
    .kernarg_segment_size: 96
    .language:       OpenCL C
    .language_version:
      - 2
      - 0
    .max_flat_workgroup_size: 119
    .name:           fft_rtc_fwd_len289_factors_17_17_wgs_119_tpt_17_dp_ip_CI_sbcc_twdbase5_3step_dirReg_intrinsicRead
    .private_segment_fixed_size: 736
    .sgpr_count:     61
    .sgpr_spill_count: 0
    .symbol:         fft_rtc_fwd_len289_factors_17_17_wgs_119_tpt_17_dp_ip_CI_sbcc_twdbase5_3step_dirReg_intrinsicRead.kd
    .uniform_work_group_size: 1
    .uses_dynamic_stack: false
    .vgpr_count:     256
    .vgpr_spill_count: 226
    .wavefront_size: 32
    .workgroup_processor_mode: 1
amdhsa.target:   amdgcn-amd-amdhsa--gfx1100
amdhsa.version:
  - 1
  - 2
...

	.end_amdgpu_metadata
